;; amdgpu-corpus repo=ROCm/rocFFT kind=compiled arch=gfx1100 opt=O3
	.text
	.amdgcn_target "amdgcn-amd-amdhsa--gfx1100"
	.amdhsa_code_object_version 6
	.protected	fft_rtc_fwd_len858_factors_13_11_6_wgs_234_tpt_78_halfLds_dp_ip_CI_unitstride_sbrr_C2R_dirReg ; -- Begin function fft_rtc_fwd_len858_factors_13_11_6_wgs_234_tpt_78_halfLds_dp_ip_CI_unitstride_sbrr_C2R_dirReg
	.globl	fft_rtc_fwd_len858_factors_13_11_6_wgs_234_tpt_78_halfLds_dp_ip_CI_unitstride_sbrr_C2R_dirReg
	.p2align	8
	.type	fft_rtc_fwd_len858_factors_13_11_6_wgs_234_tpt_78_halfLds_dp_ip_CI_unitstride_sbrr_C2R_dirReg,@function
fft_rtc_fwd_len858_factors_13_11_6_wgs_234_tpt_78_halfLds_dp_ip_CI_unitstride_sbrr_C2R_dirReg: ; @fft_rtc_fwd_len858_factors_13_11_6_wgs_234_tpt_78_halfLds_dp_ip_CI_unitstride_sbrr_C2R_dirReg
; %bb.0:
	s_load_b128 s[4:7], s[0:1], 0x0
	v_mul_u32_u24_e32 v1, 0x349, v0
	s_clause 0x1
	s_load_b64 s[8:9], s[0:1], 0x50
	s_load_b64 s[10:11], s[0:1], 0x18
	v_mov_b32_e32 v3, 0
	v_lshrrev_b32_e32 v4, 16, v1
	s_delay_alu instid0(VALU_DEP_1) | instskip(SKIP_3) | instid1(VALU_DEP_1)
	v_mad_u64_u32 v[1:2], null, s15, 3, v[4:5]
	v_mov_b32_e32 v5, 0
	v_mov_b32_e32 v6, 0
	;; [unrolled: 1-line block ×4, first 2 shown]
	s_waitcnt lgkmcnt(0)
	v_cmp_lt_u64_e64 s2, s[6:7], 2
	v_mov_b32_e32 v9, v1
	s_delay_alu instid0(VALU_DEP_2)
	s_and_b32 vcc_lo, exec_lo, s2
	s_cbranch_vccnz .LBB0_8
; %bb.1:
	s_load_b64 s[2:3], s[0:1], 0x10
	v_dual_mov_b32 v5, 0 :: v_dual_mov_b32 v8, v2
	s_add_u32 s12, s10, 8
	v_dual_mov_b32 v6, 0 :: v_dual_mov_b32 v7, v1
	s_addc_u32 s13, s11, 0
	s_mov_b64 s[16:17], 1
	s_waitcnt lgkmcnt(0)
	s_add_u32 s14, s2, 8
	s_addc_u32 s15, s3, 0
.LBB0_2:                                ; =>This Inner Loop Header: Depth=1
	s_load_b64 s[18:19], s[14:15], 0x0
                                        ; implicit-def: $vgpr9_vgpr10
	s_mov_b32 s2, exec_lo
	s_waitcnt lgkmcnt(0)
	v_or_b32_e32 v4, s19, v8
	s_delay_alu instid0(VALU_DEP_1)
	v_cmpx_ne_u64_e32 0, v[3:4]
	s_xor_b32 s3, exec_lo, s2
	s_cbranch_execz .LBB0_4
; %bb.3:                                ;   in Loop: Header=BB0_2 Depth=1
	v_cvt_f32_u32_e32 v2, s18
	v_cvt_f32_u32_e32 v4, s19
	s_sub_u32 s2, 0, s18
	s_subb_u32 s20, 0, s19
	s_delay_alu instid0(VALU_DEP_1) | instskip(NEXT) | instid1(VALU_DEP_1)
	v_fmac_f32_e32 v2, 0x4f800000, v4
	v_rcp_f32_e32 v2, v2
	s_waitcnt_depctr 0xfff
	v_mul_f32_e32 v2, 0x5f7ffffc, v2
	s_delay_alu instid0(VALU_DEP_1) | instskip(NEXT) | instid1(VALU_DEP_1)
	v_mul_f32_e32 v4, 0x2f800000, v2
	v_trunc_f32_e32 v4, v4
	s_delay_alu instid0(VALU_DEP_1) | instskip(SKIP_1) | instid1(VALU_DEP_2)
	v_fmac_f32_e32 v2, 0xcf800000, v4
	v_cvt_u32_f32_e32 v4, v4
	v_cvt_u32_f32_e32 v2, v2
	s_delay_alu instid0(VALU_DEP_2) | instskip(NEXT) | instid1(VALU_DEP_2)
	v_mul_lo_u32 v9, s2, v4
	v_mul_hi_u32 v10, s2, v2
	v_mul_lo_u32 v11, s20, v2
	s_delay_alu instid0(VALU_DEP_2) | instskip(SKIP_1) | instid1(VALU_DEP_2)
	v_add_nc_u32_e32 v9, v10, v9
	v_mul_lo_u32 v10, s2, v2
	v_add_nc_u32_e32 v9, v9, v11
	s_delay_alu instid0(VALU_DEP_2) | instskip(NEXT) | instid1(VALU_DEP_2)
	v_mul_hi_u32 v11, v2, v10
	v_mul_lo_u32 v12, v2, v9
	v_mul_hi_u32 v13, v2, v9
	v_mul_hi_u32 v14, v4, v10
	v_mul_lo_u32 v10, v4, v10
	v_mul_hi_u32 v15, v4, v9
	v_mul_lo_u32 v9, v4, v9
	v_add_co_u32 v11, vcc_lo, v11, v12
	v_add_co_ci_u32_e32 v12, vcc_lo, 0, v13, vcc_lo
	s_delay_alu instid0(VALU_DEP_2) | instskip(NEXT) | instid1(VALU_DEP_2)
	v_add_co_u32 v10, vcc_lo, v11, v10
	v_add_co_ci_u32_e32 v10, vcc_lo, v12, v14, vcc_lo
	v_add_co_ci_u32_e32 v11, vcc_lo, 0, v15, vcc_lo
	s_delay_alu instid0(VALU_DEP_2) | instskip(NEXT) | instid1(VALU_DEP_2)
	v_add_co_u32 v9, vcc_lo, v10, v9
	v_add_co_ci_u32_e32 v10, vcc_lo, 0, v11, vcc_lo
	s_delay_alu instid0(VALU_DEP_2) | instskip(NEXT) | instid1(VALU_DEP_2)
	v_add_co_u32 v2, vcc_lo, v2, v9
	v_add_co_ci_u32_e32 v4, vcc_lo, v4, v10, vcc_lo
	s_delay_alu instid0(VALU_DEP_2) | instskip(SKIP_1) | instid1(VALU_DEP_3)
	v_mul_hi_u32 v9, s2, v2
	v_mul_lo_u32 v11, s20, v2
	v_mul_lo_u32 v10, s2, v4
	s_delay_alu instid0(VALU_DEP_1) | instskip(SKIP_1) | instid1(VALU_DEP_2)
	v_add_nc_u32_e32 v9, v9, v10
	v_mul_lo_u32 v10, s2, v2
	v_add_nc_u32_e32 v9, v9, v11
	s_delay_alu instid0(VALU_DEP_2) | instskip(NEXT) | instid1(VALU_DEP_2)
	v_mul_hi_u32 v11, v2, v10
	v_mul_lo_u32 v12, v2, v9
	v_mul_hi_u32 v13, v2, v9
	v_mul_hi_u32 v14, v4, v10
	v_mul_lo_u32 v10, v4, v10
	v_mul_hi_u32 v15, v4, v9
	v_mul_lo_u32 v9, v4, v9
	v_add_co_u32 v11, vcc_lo, v11, v12
	v_add_co_ci_u32_e32 v12, vcc_lo, 0, v13, vcc_lo
	s_delay_alu instid0(VALU_DEP_2) | instskip(NEXT) | instid1(VALU_DEP_2)
	v_add_co_u32 v10, vcc_lo, v11, v10
	v_add_co_ci_u32_e32 v10, vcc_lo, v12, v14, vcc_lo
	v_add_co_ci_u32_e32 v11, vcc_lo, 0, v15, vcc_lo
	s_delay_alu instid0(VALU_DEP_2) | instskip(NEXT) | instid1(VALU_DEP_2)
	v_add_co_u32 v9, vcc_lo, v10, v9
	v_add_co_ci_u32_e32 v10, vcc_lo, 0, v11, vcc_lo
	s_delay_alu instid0(VALU_DEP_2) | instskip(NEXT) | instid1(VALU_DEP_2)
	v_add_co_u32 v2, vcc_lo, v2, v9
	v_add_co_ci_u32_e32 v4, vcc_lo, v4, v10, vcc_lo
	s_delay_alu instid0(VALU_DEP_2) | instskip(SKIP_1) | instid1(VALU_DEP_3)
	v_mul_hi_u32 v15, v7, v2
	v_mad_u64_u32 v[11:12], null, v8, v2, 0
	v_mad_u64_u32 v[9:10], null, v7, v4, 0
	;; [unrolled: 1-line block ×3, first 2 shown]
	s_delay_alu instid0(VALU_DEP_2) | instskip(NEXT) | instid1(VALU_DEP_3)
	v_add_co_u32 v2, vcc_lo, v15, v9
	v_add_co_ci_u32_e32 v4, vcc_lo, 0, v10, vcc_lo
	s_delay_alu instid0(VALU_DEP_2) | instskip(NEXT) | instid1(VALU_DEP_2)
	v_add_co_u32 v2, vcc_lo, v2, v11
	v_add_co_ci_u32_e32 v2, vcc_lo, v4, v12, vcc_lo
	v_add_co_ci_u32_e32 v4, vcc_lo, 0, v14, vcc_lo
	s_delay_alu instid0(VALU_DEP_2) | instskip(NEXT) | instid1(VALU_DEP_2)
	v_add_co_u32 v2, vcc_lo, v2, v13
	v_add_co_ci_u32_e32 v4, vcc_lo, 0, v4, vcc_lo
	s_delay_alu instid0(VALU_DEP_2) | instskip(SKIP_1) | instid1(VALU_DEP_3)
	v_mul_lo_u32 v11, s19, v2
	v_mad_u64_u32 v[9:10], null, s18, v2, 0
	v_mul_lo_u32 v12, s18, v4
	s_delay_alu instid0(VALU_DEP_2) | instskip(NEXT) | instid1(VALU_DEP_2)
	v_sub_co_u32 v9, vcc_lo, v7, v9
	v_add3_u32 v10, v10, v12, v11
	s_delay_alu instid0(VALU_DEP_1) | instskip(NEXT) | instid1(VALU_DEP_1)
	v_sub_nc_u32_e32 v11, v8, v10
	v_subrev_co_ci_u32_e64 v11, s2, s19, v11, vcc_lo
	v_add_co_u32 v12, s2, v2, 2
	s_delay_alu instid0(VALU_DEP_1) | instskip(SKIP_3) | instid1(VALU_DEP_3)
	v_add_co_ci_u32_e64 v13, s2, 0, v4, s2
	v_sub_co_u32 v14, s2, v9, s18
	v_sub_co_ci_u32_e32 v10, vcc_lo, v8, v10, vcc_lo
	v_subrev_co_ci_u32_e64 v11, s2, 0, v11, s2
	v_cmp_le_u32_e32 vcc_lo, s18, v14
	s_delay_alu instid0(VALU_DEP_3) | instskip(SKIP_1) | instid1(VALU_DEP_4)
	v_cmp_eq_u32_e64 s2, s19, v10
	v_cndmask_b32_e64 v14, 0, -1, vcc_lo
	v_cmp_le_u32_e32 vcc_lo, s19, v11
	v_cndmask_b32_e64 v15, 0, -1, vcc_lo
	v_cmp_le_u32_e32 vcc_lo, s18, v9
	;; [unrolled: 2-line block ×3, first 2 shown]
	v_cndmask_b32_e64 v16, 0, -1, vcc_lo
	v_cmp_eq_u32_e32 vcc_lo, s19, v11
	s_delay_alu instid0(VALU_DEP_2) | instskip(SKIP_3) | instid1(VALU_DEP_3)
	v_cndmask_b32_e64 v9, v16, v9, s2
	v_cndmask_b32_e32 v11, v15, v14, vcc_lo
	v_add_co_u32 v14, vcc_lo, v2, 1
	v_add_co_ci_u32_e32 v15, vcc_lo, 0, v4, vcc_lo
	v_cmp_ne_u32_e32 vcc_lo, 0, v11
	s_delay_alu instid0(VALU_DEP_2) | instskip(SKIP_1) | instid1(VALU_DEP_2)
	v_dual_cndmask_b32 v10, v15, v13 :: v_dual_cndmask_b32 v11, v14, v12
	v_cmp_ne_u32_e32 vcc_lo, 0, v9
	v_dual_cndmask_b32 v10, v4, v10 :: v_dual_cndmask_b32 v9, v2, v11
.LBB0_4:                                ;   in Loop: Header=BB0_2 Depth=1
	s_and_not1_saveexec_b32 s2, s3
	s_cbranch_execz .LBB0_6
; %bb.5:                                ;   in Loop: Header=BB0_2 Depth=1
	v_cvt_f32_u32_e32 v2, s18
	s_sub_i32 s3, 0, s18
	s_delay_alu instid0(VALU_DEP_1) | instskip(SKIP_2) | instid1(VALU_DEP_1)
	v_rcp_iflag_f32_e32 v2, v2
	s_waitcnt_depctr 0xfff
	v_mul_f32_e32 v2, 0x4f7ffffe, v2
	v_cvt_u32_f32_e32 v2, v2
	s_delay_alu instid0(VALU_DEP_1) | instskip(NEXT) | instid1(VALU_DEP_1)
	v_mul_lo_u32 v4, s3, v2
	v_mul_hi_u32 v4, v2, v4
	s_delay_alu instid0(VALU_DEP_1) | instskip(NEXT) | instid1(VALU_DEP_1)
	v_add_nc_u32_e32 v2, v2, v4
	v_mul_hi_u32 v2, v7, v2
	s_delay_alu instid0(VALU_DEP_1) | instskip(SKIP_1) | instid1(VALU_DEP_2)
	v_mul_lo_u32 v4, v2, s18
	v_add_nc_u32_e32 v9, 1, v2
	v_sub_nc_u32_e32 v4, v7, v4
	s_delay_alu instid0(VALU_DEP_1) | instskip(SKIP_1) | instid1(VALU_DEP_2)
	v_subrev_nc_u32_e32 v10, s18, v4
	v_cmp_le_u32_e32 vcc_lo, s18, v4
	v_cndmask_b32_e32 v4, v4, v10, vcc_lo
	v_mov_b32_e32 v10, v3
	v_cndmask_b32_e32 v2, v2, v9, vcc_lo
	s_delay_alu instid0(VALU_DEP_3) | instskip(NEXT) | instid1(VALU_DEP_2)
	v_cmp_le_u32_e32 vcc_lo, s18, v4
	v_add_nc_u32_e32 v9, 1, v2
	s_delay_alu instid0(VALU_DEP_1)
	v_cndmask_b32_e32 v9, v2, v9, vcc_lo
.LBB0_6:                                ;   in Loop: Header=BB0_2 Depth=1
	s_or_b32 exec_lo, exec_lo, s2
	s_load_b64 s[2:3], s[12:13], 0x0
	v_mul_lo_u32 v2, v10, s18
	s_delay_alu instid0(VALU_DEP_2)
	v_mul_lo_u32 v4, v9, s19
	v_mad_u64_u32 v[11:12], null, v9, s18, 0
	s_add_u32 s16, s16, 1
	s_addc_u32 s17, s17, 0
	s_add_u32 s12, s12, 8
	s_addc_u32 s13, s13, 0
	;; [unrolled: 2-line block ×3, first 2 shown]
	s_delay_alu instid0(VALU_DEP_1) | instskip(SKIP_1) | instid1(VALU_DEP_2)
	v_add3_u32 v2, v12, v4, v2
	v_sub_co_u32 v4, vcc_lo, v7, v11
	v_sub_co_ci_u32_e32 v2, vcc_lo, v8, v2, vcc_lo
	s_waitcnt lgkmcnt(0)
	s_delay_alu instid0(VALU_DEP_2) | instskip(NEXT) | instid1(VALU_DEP_2)
	v_mul_lo_u32 v11, s3, v4
	v_mul_lo_u32 v2, s2, v2
	v_mad_u64_u32 v[7:8], null, s2, v4, v[5:6]
	v_cmp_ge_u64_e64 s2, s[16:17], s[6:7]
	s_delay_alu instid0(VALU_DEP_1) | instskip(NEXT) | instid1(VALU_DEP_2)
	s_and_b32 vcc_lo, exec_lo, s2
	v_add3_u32 v6, v11, v8, v2
	s_delay_alu instid0(VALU_DEP_3)
	v_mov_b32_e32 v5, v7
	s_cbranch_vccnz .LBB0_8
; %bb.7:                                ;   in Loop: Header=BB0_2 Depth=1
	v_dual_mov_b32 v7, v9 :: v_dual_mov_b32 v8, v10
	s_branch .LBB0_2
.LBB0_8:
	s_lshl_b64 s[2:3], s[6:7], 3
	v_mul_hi_u32 v2, 0xaaaaaaab, v1
	s_add_u32 s2, s10, s2
	s_addc_u32 s3, s11, s3
	s_load_b64 s[0:1], s[0:1], 0x20
	s_load_b64 s[2:3], s[2:3], 0x0
	v_mul_hi_u32 v4, 0x3483484, v0
	s_delay_alu instid0(VALU_DEP_2) | instskip(NEXT) | instid1(VALU_DEP_2)
	v_lshrrev_b32_e32 v2, 1, v2
	v_mul_u32_u24_e32 v4, 0x4e, v4
	s_delay_alu instid0(VALU_DEP_2) | instskip(NEXT) | instid1(VALU_DEP_2)
	v_lshl_add_u32 v7, v2, 1, v2
	v_sub_nc_u32_e32 v56, v0, v4
	s_delay_alu instid0(VALU_DEP_2)
	v_sub_nc_u32_e32 v1, v1, v7
	s_waitcnt lgkmcnt(0)
	v_cmp_gt_u64_e32 vcc_lo, s[0:1], v[9:10]
	v_mul_lo_u32 v8, s2, v10
	v_mul_lo_u32 v11, s3, v9
	v_mad_u64_u32 v[2:3], null, s2, v9, v[5:6]
	v_mul_u32_u24_e32 v1, 0x35b, v1
	s_delay_alu instid0(VALU_DEP_1) | instskip(NEXT) | instid1(VALU_DEP_3)
	v_lshlrev_b32_e32 v133, 4, v1
	v_add3_u32 v3, v11, v3, v8
	s_delay_alu instid0(VALU_DEP_1)
	v_lshlrev_b64 v[58:59], 4, v[2:3]
	s_and_saveexec_b32 s1, vcc_lo
	s_cbranch_execz .LBB0_12
; %bb.9:
	v_mov_b32_e32 v57, 0
	s_delay_alu instid0(VALU_DEP_2) | instskip(NEXT) | instid1(VALU_DEP_1)
	v_add_co_u32 v0, s0, s8, v58
	v_add_co_ci_u32_e64 v2, s0, s9, v59, s0
	s_delay_alu instid0(VALU_DEP_3) | instskip(SKIP_1) | instid1(VALU_DEP_1)
	v_lshlrev_b64 v[3:4], 4, v[56:57]
	s_mov_b32 s2, exec_lo
	v_add_co_u32 v28, s0, v0, v3
	s_delay_alu instid0(VALU_DEP_1) | instskip(SKIP_1) | instid1(VALU_DEP_3)
	v_add_co_ci_u32_e64 v29, s0, v2, v4, s0
	v_lshlrev_b32_e32 v3, 4, v56
	v_add_co_u32 v30, s0, 0x1000, v28
	s_delay_alu instid0(VALU_DEP_1) | instskip(SKIP_1) | instid1(VALU_DEP_1)
	v_add_co_ci_u32_e64 v31, s0, 0, v29, s0
	v_add_co_u32 v40, s0, 0x2000, v28
	v_add_co_ci_u32_e64 v41, s0, 0, v29, s0
	v_add_co_u32 v44, s0, 0x3000, v28
	s_delay_alu instid0(VALU_DEP_1)
	v_add_co_ci_u32_e64 v45, s0, 0, v29, s0
	s_clause 0xa
	global_load_b128 v[4:7], v[28:29], off
	global_load_b128 v[8:11], v[28:29], off offset:1248
	global_load_b128 v[12:15], v[28:29], off offset:2496
	;; [unrolled: 1-line block ×10, first 2 shown]
	v_add3_u32 v3, 0, v133, v3
	s_waitcnt vmcnt(10)
	ds_store_b128 v3, v[4:7]
	s_waitcnt vmcnt(9)
	ds_store_b128 v3, v[8:11] offset:1248
	s_waitcnt vmcnt(8)
	ds_store_b128 v3, v[12:15] offset:2496
	;; [unrolled: 2-line block ×10, first 2 shown]
	v_cmpx_eq_u32_e32 0x4d, v56
	s_cbranch_execz .LBB0_11
; %bb.10:
	v_add_co_u32 v4, s0, 0x3000, v0
	s_delay_alu instid0(VALU_DEP_1)
	v_add_co_ci_u32_e64 v5, s0, 0, v2, s0
	v_mov_b32_e32 v56, 0x4d
	global_load_b128 v[4:7], v[4:5], off offset:1440
	s_waitcnt vmcnt(0)
	ds_store_b128 v3, v[4:7] offset:12496
.LBB0_11:
	s_or_b32 exec_lo, exec_lo, s2
.LBB0_12:
	s_delay_alu instid0(SALU_CYCLE_1)
	s_or_b32 exec_lo, exec_lo, s1
	v_lshl_add_u32 v132, v1, 4, 0
	v_lshlrev_b32_e32 v10, 4, v56
	s_waitcnt lgkmcnt(0)
	s_barrier
	buffer_gl0_inv
	s_add_u32 s1, s4, 0x34d0
	v_add_nc_u32_e32 v134, v132, v10
	v_sub_nc_u32_e32 v11, v132, v10
	s_addc_u32 s2, s5, 0
	s_mov_b32 s3, exec_lo
	ds_load_b64 v[6:7], v134
	ds_load_b64 v[8:9], v11 offset:13728
                                        ; implicit-def: $vgpr4_vgpr5
	s_waitcnt lgkmcnt(0)
	v_add_f64 v[0:1], v[6:7], v[8:9]
	v_add_f64 v[2:3], v[6:7], -v[8:9]
	v_cmpx_ne_u32_e32 0, v56
	s_xor_b32 s3, exec_lo, s3
	s_cbranch_execz .LBB0_14
; %bb.13:
	v_mov_b32_e32 v57, 0
	v_add_f64 v[14:15], v[6:7], v[8:9]
	v_add_f64 v[16:17], v[6:7], -v[8:9]
	s_delay_alu instid0(VALU_DEP_3) | instskip(NEXT) | instid1(VALU_DEP_1)
	v_lshlrev_b64 v[0:1], 4, v[56:57]
	v_add_co_u32 v0, s0, s1, v0
	s_delay_alu instid0(VALU_DEP_1)
	v_add_co_ci_u32_e64 v1, s0, s2, v1, s0
	global_load_b128 v[2:5], v[0:1], off
	ds_load_b64 v[0:1], v11 offset:13736
	ds_load_b64 v[12:13], v134 offset:8
	s_waitcnt lgkmcnt(0)
	v_add_f64 v[6:7], v[0:1], v[12:13]
	v_add_f64 v[0:1], v[12:13], -v[0:1]
	s_waitcnt vmcnt(0)
	v_fma_f64 v[8:9], v[16:17], v[4:5], v[14:15]
	v_fma_f64 v[12:13], -v[16:17], v[4:5], v[14:15]
	s_delay_alu instid0(VALU_DEP_3) | instskip(SKIP_1) | instid1(VALU_DEP_4)
	v_fma_f64 v[14:15], v[6:7], v[4:5], -v[0:1]
	v_fma_f64 v[4:5], v[6:7], v[4:5], v[0:1]
	v_fma_f64 v[0:1], -v[6:7], v[2:3], v[8:9]
	s_delay_alu instid0(VALU_DEP_4) | instskip(NEXT) | instid1(VALU_DEP_4)
	v_fma_f64 v[6:7], v[6:7], v[2:3], v[12:13]
	v_fma_f64 v[8:9], v[16:17], v[2:3], v[14:15]
	s_delay_alu instid0(VALU_DEP_4)
	v_fma_f64 v[2:3], v[16:17], v[2:3], v[4:5]
	v_dual_mov_b32 v4, v56 :: v_dual_mov_b32 v5, v57
	ds_store_b128 v11, v[6:9] offset:13728
.LBB0_14:
	s_and_not1_saveexec_b32 s0, s3
	s_cbranch_execz .LBB0_16
; %bb.15:
	ds_load_b128 v[4:7], v132 offset:6864
	s_waitcnt lgkmcnt(0)
	v_add_f64 v[12:13], v[4:5], v[4:5]
	v_mul_f64 v[14:15], v[6:7], -2.0
	v_mov_b32_e32 v4, 0
	v_mov_b32_e32 v5, 0
	ds_store_b128 v132, v[12:15] offset:6864
.LBB0_16:
	s_or_b32 exec_lo, exec_lo, s0
	v_lshlrev_b64 v[4:5], 4, v[4:5]
	s_delay_alu instid0(VALU_DEP_1) | instskip(NEXT) | instid1(VALU_DEP_1)
	v_add_co_u32 v24, s0, s1, v4
	v_add_co_ci_u32_e64 v25, s0, s2, v5, s0
	s_mov_b32 s1, exec_lo
	s_clause 0x1
	global_load_b128 v[4:7], v[24:25], off offset:1248
	global_load_b128 v[12:15], v[24:25], off offset:2496
	ds_store_b128 v134, v[0:3]
	ds_load_b128 v[0:3], v134 offset:1248
	ds_load_b128 v[16:19], v11 offset:12480
	global_load_b128 v[20:23], v[24:25], off offset:3744
	s_waitcnt lgkmcnt(0)
	v_add_f64 v[8:9], v[0:1], v[16:17]
	v_add_f64 v[26:27], v[18:19], v[2:3]
	v_add_f64 v[16:17], v[0:1], -v[16:17]
	v_add_f64 v[0:1], v[2:3], -v[18:19]
	s_waitcnt vmcnt(2)
	s_delay_alu instid0(VALU_DEP_2) | instskip(NEXT) | instid1(VALU_DEP_2)
	v_fma_f64 v[2:3], v[16:17], v[6:7], v[8:9]
	v_fma_f64 v[18:19], v[26:27], v[6:7], v[0:1]
	v_fma_f64 v[8:9], -v[16:17], v[6:7], v[8:9]
	v_fma_f64 v[28:29], v[26:27], v[6:7], -v[0:1]
	s_delay_alu instid0(VALU_DEP_4) | instskip(NEXT) | instid1(VALU_DEP_4)
	v_fma_f64 v[0:1], -v[26:27], v[4:5], v[2:3]
	v_fma_f64 v[2:3], v[16:17], v[4:5], v[18:19]
	s_delay_alu instid0(VALU_DEP_4) | instskip(NEXT) | instid1(VALU_DEP_4)
	v_fma_f64 v[6:7], v[26:27], v[4:5], v[8:9]
	v_fma_f64 v[8:9], v[16:17], v[4:5], v[28:29]
	ds_store_b128 v134, v[0:3] offset:1248
	ds_store_b128 v11, v[6:9] offset:12480
	ds_load_b128 v[2:5], v134 offset:2496
	ds_load_b128 v[6:9], v11 offset:11232
	v_add_co_u32 v0, s0, 0x1000, v24
	s_delay_alu instid0(VALU_DEP_1)
	v_add_co_ci_u32_e64 v1, s0, 0, v25, s0
	global_load_b128 v[16:19], v[0:1], off offset:896
	s_waitcnt lgkmcnt(0)
	v_add_f64 v[24:25], v[2:3], v[6:7]
	v_add_f64 v[26:27], v[8:9], v[4:5]
	v_add_f64 v[28:29], v[2:3], -v[6:7]
	v_add_f64 v[2:3], v[4:5], -v[8:9]
	s_waitcnt vmcnt(2)
	s_delay_alu instid0(VALU_DEP_2) | instskip(NEXT) | instid1(VALU_DEP_2)
	v_fma_f64 v[4:5], v[28:29], v[14:15], v[24:25]
	v_fma_f64 v[6:7], v[26:27], v[14:15], v[2:3]
	v_fma_f64 v[8:9], -v[28:29], v[14:15], v[24:25]
	v_fma_f64 v[14:15], v[26:27], v[14:15], -v[2:3]
	s_delay_alu instid0(VALU_DEP_4) | instskip(NEXT) | instid1(VALU_DEP_4)
	v_fma_f64 v[2:3], -v[26:27], v[12:13], v[4:5]
	v_fma_f64 v[4:5], v[28:29], v[12:13], v[6:7]
	s_delay_alu instid0(VALU_DEP_4) | instskip(NEXT) | instid1(VALU_DEP_4)
	v_fma_f64 v[6:7], v[26:27], v[12:13], v[8:9]
	v_fma_f64 v[8:9], v[28:29], v[12:13], v[14:15]
	ds_store_b128 v134, v[2:5] offset:2496
	ds_store_b128 v11, v[6:9] offset:11232
	ds_load_b128 v[2:5], v134 offset:3744
	ds_load_b128 v[6:9], v11 offset:9984
	s_waitcnt lgkmcnt(0)
	v_add_f64 v[12:13], v[2:3], v[6:7]
	v_add_f64 v[14:15], v[8:9], v[4:5]
	v_add_f64 v[24:25], v[2:3], -v[6:7]
	v_add_f64 v[2:3], v[4:5], -v[8:9]
	s_waitcnt vmcnt(1)
	s_delay_alu instid0(VALU_DEP_2) | instskip(NEXT) | instid1(VALU_DEP_2)
	v_fma_f64 v[4:5], v[24:25], v[22:23], v[12:13]
	v_fma_f64 v[6:7], v[14:15], v[22:23], v[2:3]
	v_fma_f64 v[8:9], -v[24:25], v[22:23], v[12:13]
	v_fma_f64 v[12:13], v[14:15], v[22:23], -v[2:3]
	s_delay_alu instid0(VALU_DEP_4) | instskip(NEXT) | instid1(VALU_DEP_4)
	v_fma_f64 v[2:3], -v[14:15], v[20:21], v[4:5]
	v_fma_f64 v[4:5], v[24:25], v[20:21], v[6:7]
	s_delay_alu instid0(VALU_DEP_4) | instskip(NEXT) | instid1(VALU_DEP_4)
	v_fma_f64 v[6:7], v[14:15], v[20:21], v[8:9]
	v_fma_f64 v[8:9], v[24:25], v[20:21], v[12:13]
	ds_store_b128 v134, v[2:5] offset:3744
	ds_store_b128 v11, v[6:9] offset:9984
	ds_load_b128 v[2:5], v134 offset:4992
	ds_load_b128 v[6:9], v11 offset:8736
	s_waitcnt lgkmcnt(0)
	v_add_f64 v[12:13], v[2:3], v[6:7]
	v_add_f64 v[14:15], v[8:9], v[4:5]
	v_add_f64 v[20:21], v[2:3], -v[6:7]
	v_add_f64 v[2:3], v[4:5], -v[8:9]
	s_waitcnt vmcnt(0)
	s_delay_alu instid0(VALU_DEP_2) | instskip(NEXT) | instid1(VALU_DEP_2)
	v_fma_f64 v[4:5], v[20:21], v[18:19], v[12:13]
	v_fma_f64 v[6:7], v[14:15], v[18:19], v[2:3]
	v_fma_f64 v[8:9], -v[20:21], v[18:19], v[12:13]
	v_fma_f64 v[12:13], v[14:15], v[18:19], -v[2:3]
	s_delay_alu instid0(VALU_DEP_4) | instskip(NEXT) | instid1(VALU_DEP_4)
	v_fma_f64 v[2:3], -v[14:15], v[16:17], v[4:5]
	v_fma_f64 v[4:5], v[20:21], v[16:17], v[6:7]
	s_delay_alu instid0(VALU_DEP_4) | instskip(NEXT) | instid1(VALU_DEP_4)
	v_fma_f64 v[6:7], v[14:15], v[16:17], v[8:9]
	v_fma_f64 v[8:9], v[20:21], v[16:17], v[12:13]
	ds_store_b128 v134, v[2:5] offset:4992
	ds_store_b128 v11, v[6:9] offset:8736
	v_cmpx_gt_u32_e32 39, v56
	s_cbranch_execz .LBB0_18
; %bb.17:
	global_load_b128 v[0:3], v[0:1], off offset:2144
	ds_load_b128 v[4:7], v134 offset:6240
	ds_load_b128 v[12:15], v11 offset:7488
	s_waitcnt lgkmcnt(0)
	v_add_f64 v[8:9], v[4:5], v[12:13]
	v_add_f64 v[16:17], v[14:15], v[6:7]
	v_add_f64 v[12:13], v[4:5], -v[12:13]
	v_add_f64 v[4:5], v[6:7], -v[14:15]
	s_waitcnt vmcnt(0)
	s_delay_alu instid0(VALU_DEP_2) | instskip(NEXT) | instid1(VALU_DEP_2)
	v_fma_f64 v[6:7], v[12:13], v[2:3], v[8:9]
	v_fma_f64 v[14:15], v[16:17], v[2:3], v[4:5]
	v_fma_f64 v[8:9], -v[12:13], v[2:3], v[8:9]
	v_fma_f64 v[18:19], v[16:17], v[2:3], -v[4:5]
	s_delay_alu instid0(VALU_DEP_4) | instskip(NEXT) | instid1(VALU_DEP_4)
	v_fma_f64 v[2:3], -v[16:17], v[0:1], v[6:7]
	v_fma_f64 v[4:5], v[12:13], v[0:1], v[14:15]
	s_delay_alu instid0(VALU_DEP_4) | instskip(NEXT) | instid1(VALU_DEP_4)
	v_fma_f64 v[6:7], v[16:17], v[0:1], v[8:9]
	v_fma_f64 v[8:9], v[12:13], v[0:1], v[18:19]
	ds_store_b128 v134, v[2:5] offset:6240
	ds_store_b128 v11, v[6:9] offset:7488
.LBB0_18:
	s_or_b32 exec_lo, exec_lo, s1
	v_add3_u32 v57, 0, v10, v133
	s_waitcnt lgkmcnt(0)
	s_barrier
	buffer_gl0_inv
	s_barrier
	buffer_gl0_inv
	ds_load_b128 v[4:7], v57 offset:12672
	ds_load_b128 v[44:47], v57 offset:1056
	ds_load_b128 v[24:27], v134
	ds_load_b128 v[8:11], v57 offset:11616
	ds_load_b128 v[52:55], v57 offset:2112
	s_mov_b32 s12, 0x42a4c3d2
	s_mov_b32 s13, 0xbfea55e2
	ds_load_b128 v[48:51], v57 offset:3168
	ds_load_b128 v[12:15], v57 offset:10560
	s_mov_b32 s2, 0x1ea71119
	s_mov_b32 s16, 0x2ef20147
	s_mov_b32 s3, 0x3fe22d96
	s_mov_b32 s17, 0xbfedeba7
	ds_load_b128 v[16:19], v57 offset:9504
	ds_load_b128 v[40:43], v57 offset:4224
	s_mov_b32 s6, 0xb2365da1
	s_mov_b32 s10, 0x4bc48dbf
	;; [unrolled: 6-line block ×3, first 2 shown]
	s_mov_b32 s15, 0xbfef11f4
	s_mov_b32 s19, 0x3fe5384d
	s_waitcnt lgkmcnt(9)
	v_add_f64 v[98:99], v[46:47], -v[6:7]
	v_add_f64 v[86:87], v[44:45], -v[4:5]
	v_add_f64 v[78:79], v[44:45], v[4:5]
	v_add_f64 v[126:127], v[46:47], v[6:7]
	s_waitcnt lgkmcnt(6)
	v_add_f64 v[118:119], v[54:55], -v[10:11]
	v_add_f64 v[80:81], v[52:53], -v[8:9]
	v_add_f64 v[74:75], v[52:53], v[8:9]
	v_add_f64 v[120:121], v[54:55], v[10:11]
	;; [unrolled: 5-line block ×4, first 2 shown]
	s_waitcnt lgkmcnt(0)
	v_add_f64 v[76:77], v[30:31], -v[22:23]
	v_add_f64 v[64:65], v[28:29], -v[20:21]
	s_mov_b32 s20, 0xd0032e0c
	s_mov_b32 s26, 0x66966769
	;; [unrolled: 1-line block ×4, first 2 shown]
	v_add_f64 v[66:67], v[28:29], v[20:21]
	v_add_f64 v[128:129], v[30:31], v[22:23]
	s_mov_b32 s22, 0xebaa3ed8
	s_mov_b32 s28, 0x4267c47c
	;; [unrolled: 1-line block ×6, first 2 shown]
	s_mov_b32 s33, exec_lo
	v_mul_f64 v[92:93], v[98:99], s[12:13]
	v_mul_f64 v[96:97], v[86:87], s[12:13]
	;; [unrolled: 1-line block ×10, first 2 shown]
	v_fma_f64 v[0:1], v[78:79], s[2:3], v[92:93]
	v_fma_f64 v[2:3], v[126:127], s[2:3], -v[96:97]
	v_fma_f64 v[32:33], v[74:75], s[6:7], v[90:91]
	v_fma_f64 v[34:35], v[120:121], s[6:7], -v[94:95]
	;; [unrolled: 2-line block ×5, first 2 shown]
	v_add_f64 v[0:1], v[24:25], v[0:1]
	v_add_f64 v[2:3], v[26:27], v[2:3]
	s_delay_alu instid0(VALU_DEP_2) | instskip(NEXT) | instid1(VALU_DEP_2)
	v_add_f64 v[0:1], v[32:33], v[0:1]
	v_add_f64 v[2:3], v[34:35], v[2:3]
	ds_load_b128 v[36:39], v57 offset:6336
	ds_load_b128 v[32:35], v57 offset:7392
	s_waitcnt lgkmcnt(0)
	s_barrier
	buffer_gl0_inv
	v_add_f64 v[84:85], v[38:39], -v[34:35]
	v_add_f64 v[62:63], v[36:37], -v[32:33]
	v_add_f64 v[130:131], v[38:39], v[34:35]
	v_add_f64 v[0:1], v[60:61], v[0:1]
	;; [unrolled: 1-line block ×4, first 2 shown]
	v_mul_f64 v[114:115], v[84:85], s[28:29]
	v_mul_f64 v[116:117], v[62:63], s[28:29]
	v_add_f64 v[0:1], v[135:136], v[0:1]
	v_add_f64 v[2:3], v[137:138], v[2:3]
	s_delay_alu instid0(VALU_DEP_4) | instskip(NEXT) | instid1(VALU_DEP_4)
	v_fma_f64 v[135:136], v[60:61], s[24:25], v[114:115]
	v_fma_f64 v[137:138], v[130:131], s[24:25], -v[116:117]
	s_delay_alu instid0(VALU_DEP_4) | instskip(NEXT) | instid1(VALU_DEP_4)
	v_add_f64 v[0:1], v[139:140], v[0:1]
	v_add_f64 v[2:3], v[141:142], v[2:3]
	s_delay_alu instid0(VALU_DEP_2) | instskip(NEXT) | instid1(VALU_DEP_2)
	v_add_f64 v[0:1], v[135:136], v[0:1]
	v_add_f64 v[2:3], v[137:138], v[2:3]
	v_cmpx_gt_u32_e32 0x42, v56
	s_cbranch_execz .LBB0_20
; %bb.19:
	v_add_f64 v[46:47], v[26:27], v[46:47]
	v_add_f64 v[44:45], v[24:25], v[44:45]
	s_mov_b32 s39, 0xbfefc445
	s_mov_b32 s38, s26
	;; [unrolled: 1-line block ×4, first 2 shown]
	v_mul_f64 v[135:136], v[126:127], s[20:21]
	v_mul_f64 v[137:138], v[78:79], s[2:3]
	;; [unrolled: 1-line block ×26, first 2 shown]
	s_mov_b32 s35, 0xbfddbe06
	s_mov_b32 s34, s28
	v_mul_f64 v[201:202], v[120:121], s[14:15]
	s_mov_b32 s31, 0x3fcea1e5
	s_mov_b32 s30, s10
	v_mul_f64 v[120:121], v[120:121], s[2:3]
	v_add_f64 v[46:47], v[46:47], v[54:55]
	v_add_f64 v[44:45], v[44:45], v[52:53]
	v_mul_f64 v[52:53], v[126:127], s[14:15]
	v_mul_f64 v[54:55], v[98:99], s[10:11]
	;; [unrolled: 1-line block ×4, first 2 shown]
	s_mov_b32 s37, 0x3fedeba7
	s_mov_b32 s36, s16
	;; [unrolled: 1-line block ×4, first 2 shown]
	v_fma_f64 v[233:234], v[86:87], s[18:19], v[135:136]
	v_fma_f64 v[135:136], v[86:87], s[0:1], v[135:136]
	v_add_f64 v[96:97], v[96:97], v[143:144]
	v_add_f64 v[92:93], v[137:138], -v[92:93]
	v_mul_f64 v[203:204], v[118:119], s[18:19]
	v_mul_f64 v[205:206], v[118:119], s[10:11]
	v_fma_f64 v[235:236], v[86:87], s[36:37], v[139:140]
	v_fma_f64 v[237:238], v[78:79], s[6:7], v[141:142]
	;; [unrolled: 1-line block ×5, first 2 shown]
	v_add_f64 v[116:117], v[116:117], v[153:154]
	v_add_f64 v[112:113], v[112:113], v[151:152]
	;; [unrolled: 1-line block ×3, first 2 shown]
	v_add_f64 v[106:107], v[165:166], -v[106:107]
	v_add_f64 v[102:103], v[159:160], -v[102:103]
	;; [unrolled: 1-line block ×3, first 2 shown]
	v_fma_f64 v[151:152], v[82:83], s[28:29], v[191:192]
	v_fma_f64 v[153:154], v[82:83], s[16:17], v[193:194]
	;; [unrolled: 1-line block ×7, first 2 shown]
	v_fma_f64 v[141:142], v[78:79], s[6:7], -v[141:142]
	v_mul_f64 v[209:210], v[100:101], s[28:29]
	v_mul_f64 v[225:226], v[100:101], s[0:1]
	;; [unrolled: 1-line block ×3, first 2 shown]
	v_add_f64 v[50:51], v[46:47], v[50:51]
	v_add_f64 v[48:49], v[44:45], v[48:49]
	v_fma_f64 v[229:230], v[86:87], s[30:31], v[52:53]
	v_fma_f64 v[231:232], v[78:79], s[14:15], v[54:55]
	v_fma_f64 v[52:53], v[86:87], s[10:11], v[52:53]
	v_fma_f64 v[54:55], v[78:79], s[14:15], -v[54:55]
	v_fma_f64 v[137:138], v[86:87], s[28:29], v[126:127]
	v_fma_f64 v[86:87], v[86:87], s[34:35], v[126:127]
	;; [unrolled: 1-line block ×3, first 2 shown]
	v_mul_f64 v[207:208], v[100:101], s[12:13]
	v_add_f64 v[233:234], v[26:27], v[233:234]
	v_add_f64 v[135:136], v[26:27], v[135:136]
	;; [unrolled: 1-line block ×4, first 2 shown]
	v_mul_f64 v[100:101], v[100:101], s[38:39]
	v_mul_f64 v[179:180], v[124:125], s[2:3]
	v_add_f64 v[235:236], v[26:27], v[235:236]
	v_add_f64 v[237:238], v[24:25], v[237:238]
	;; [unrolled: 1-line block ×5, first 2 shown]
	v_mul_f64 v[181:182], v[124:125], s[14:15]
	v_mul_f64 v[183:184], v[124:125], s[22:23]
	;; [unrolled: 1-line block ×13, first 2 shown]
	v_add_f64 v[141:142], v[24:25], v[141:142]
	v_mul_f64 v[173:174], v[128:129], s[24:25]
	v_mul_f64 v[175:176], v[128:129], s[14:15]
	;; [unrolled: 1-line block ×3, first 2 shown]
	v_add_f64 v[42:43], v[50:51], v[42:43]
	v_add_f64 v[40:41], v[48:49], v[40:41]
	v_mul_f64 v[48:49], v[118:119], s[28:29]
	v_mul_f64 v[50:51], v[118:119], s[26:27]
	;; [unrolled: 1-line block ×3, first 2 shown]
	v_add_f64 v[52:53], v[26:27], v[52:53]
	v_add_f64 v[54:55], v[24:25], v[54:55]
	;; [unrolled: 1-line block ×3, first 2 shown]
	v_mul_f64 v[128:129], v[128:129], s[20:21]
	v_mul_f64 v[217:218], v[76:77], s[28:29]
	;; [unrolled: 1-line block ×3, first 2 shown]
	v_add_f64 v[135:136], v[165:166], v[135:136]
	v_add_f64 v[94:95], v[94:95], v[96:97]
	;; [unrolled: 1-line block ×3, first 2 shown]
	v_mul_f64 v[165:166], v[84:85], s[40:41]
	v_fma_f64 v[96:97], v[70:71], s[12:13], v[179:180]
	v_add_f64 v[171:172], v[171:172], v[235:236]
	v_fma_f64 v[179:180], v[70:71], s[40:41], v[179:180]
	v_fma_f64 v[92:93], v[70:71], s[10:11], v[181:182]
	;; [unrolled: 1-line block ×5, first 2 shown]
	v_add_f64 v[30:31], v[42:43], v[30:31]
	v_add_f64 v[28:29], v[40:41], v[28:29]
	;; [unrolled: 1-line block ×4, first 2 shown]
	v_add_f64 v[104:105], v[157:158], -v[114:115]
	v_add_f64 v[108:109], v[161:162], -v[110:111]
	v_fma_f64 v[110:111], v[82:83], s[18:19], v[187:188]
	v_fma_f64 v[114:115], v[82:83], s[0:1], v[187:188]
	;; [unrolled: 1-line block ×9, first 2 shown]
	v_fma_f64 v[195:196], v[78:79], s[20:21], -v[221:222]
	v_fma_f64 v[197:198], v[78:79], s[22:23], v[223:224]
	v_fma_f64 v[199:200], v[78:79], s[22:23], -v[223:224]
	v_fma_f64 v[189:190], v[80:81], s[30:31], v[201:202]
	v_fma_f64 v[191:192], v[80:81], s[10:11], v[201:202]
	v_fma_f64 v[201:202], v[78:79], s[24:25], v[98:99]
	v_fma_f64 v[78:79], v[78:79], s[24:25], -v[98:99]
	v_fma_f64 v[98:99], v[80:81], s[40:41], v[120:121]
	v_fma_f64 v[80:81], v[80:81], s[12:13], v[120:121]
	v_fma_f64 v[120:121], v[74:75], s[24:25], v[48:49]
	v_fma_f64 v[48:49], v[74:75], s[24:25], -v[48:49]
	v_add_f64 v[223:224], v[26:27], v[229:230]
	v_add_f64 v[229:230], v[24:25], v[231:232]
	v_fma_f64 v[221:222], v[74:75], s[14:15], v[205:206]
	v_fma_f64 v[205:206], v[74:75], s[14:15], -v[205:206]
	v_add_f64 v[26:27], v[26:27], v[86:87]
	v_add_f64 v[86:87], v[24:25], v[193:194]
	v_fma_f64 v[231:232], v[74:75], s[2:3], v[118:119]
	v_add_f64 v[52:53], v[159:160], v[52:53]
	v_mul_f64 v[159:160], v[72:73], s[40:41]
	v_add_f64 v[90:91], v[102:103], v[90:91]
	v_fma_f64 v[102:103], v[66:67], s[24:25], -v[217:218]
	v_add_f64 v[30:31], v[30:31], v[38:39]
	v_add_f64 v[28:29], v[28:29], v[36:37]
	v_fma_f64 v[36:37], v[74:75], s[22:23], v[50:51]
	v_fma_f64 v[38:39], v[74:75], s[22:23], -v[50:51]
	v_fma_f64 v[50:51], v[74:75], s[20:21], v[203:204]
	v_fma_f64 v[203:204], v[74:75], s[20:21], -v[203:204]
	v_fma_f64 v[74:75], v[74:75], s[2:3], -v[118:119]
	v_fma_f64 v[118:119], v[88:89], s[2:3], v[207:208]
	v_fma_f64 v[207:208], v[88:89], s[2:3], -v[207:208]
	v_add_f64 v[42:43], v[42:43], v[94:95]
	v_add_f64 v[161:162], v[161:162], v[233:234]
	;; [unrolled: 1-line block ×10, first 2 shown]
	v_fma_f64 v[78:79], v[88:89], s[24:25], v[209:210]
	v_fma_f64 v[201:202], v[88:89], s[24:25], -v[209:210]
	v_fma_f64 v[209:210], v[88:89], s[20:21], v[225:226]
	v_fma_f64 v[225:226], v[88:89], s[20:21], -v[225:226]
	v_add_f64 v[48:49], v[48:49], v[54:55]
	v_add_f64 v[122:123], v[122:123], v[223:224]
	;; [unrolled: 1-line block ×3, first 2 shown]
	v_mul_f64 v[54:55], v[72:73], s[30:31]
	v_mul_f64 v[72:73], v[72:73], s[38:39]
	v_add_f64 v[98:99], v[98:99], v[137:138]
	v_add_f64 v[26:27], v[80:81], v[26:27]
	;; [unrolled: 1-line block ×3, first 2 shown]
	v_mul_f64 v[233:234], v[76:77], s[30:31]
	v_mul_f64 v[76:77], v[76:77], s[0:1]
	v_fma_f64 v[137:138], v[68:69], s[24:25], -v[211:212]
	v_fma_f64 v[189:190], v[64:65], s[34:35], v[173:174]
	v_add_f64 v[30:31], v[30:31], v[34:35]
	v_add_f64 v[28:29], v[28:29], v[32:33]
	v_fma_f64 v[34:35], v[88:89], s[6:7], -v[227:228]
	v_add_f64 v[36:37], v[36:37], v[86:87]
	v_add_f64 v[50:51], v[50:51], v[237:238]
	;; [unrolled: 1-line block ×3, first 2 shown]
	v_fma_f64 v[32:33], v[88:89], s[6:7], v[227:228]
	v_fma_f64 v[227:228], v[88:89], s[22:23], v[100:101]
	v_fma_f64 v[88:89], v[88:89], s[22:23], -v[100:101]
	v_fma_f64 v[86:87], v[70:71], s[36:37], v[124:125]
	v_mul_f64 v[100:101], v[84:85], s[26:27]
	v_fma_f64 v[203:204], v[64:65], s[36:37], v[130:131]
	v_fma_f64 v[130:131], v[64:65], s[16:17], v[130:131]
	v_add_f64 v[114:115], v[126:127], v[161:162]
	v_fma_f64 v[173:174], v[64:65], s[28:29], v[173:174]
	v_add_f64 v[38:39], v[38:39], v[193:194]
	v_add_f64 v[80:81], v[221:222], v[195:196]
	;; [unrolled: 1-line block ×3, first 2 shown]
	v_fma_f64 v[195:196], v[68:69], s[2:3], v[159:160]
	v_fma_f64 v[159:160], v[68:69], s[2:3], -v[159:160]
	v_fma_f64 v[205:206], v[70:71], s[26:27], v[183:184]
	v_add_f64 v[24:25], v[74:75], v[24:25]
	v_fma_f64 v[183:184], v[70:71], s[38:39], v[183:184]
	v_fma_f64 v[74:75], v[70:71], s[28:29], v[185:186]
	v_fma_f64 v[193:194], v[68:69], s[6:7], -v[213:214]
	v_fma_f64 v[191:192], v[64:65], s[10:11], v[175:176]
	v_add_f64 v[48:49], v[225:226], v[48:49]
	v_fma_f64 v[175:176], v[64:65], s[30:31], v[175:176]
	v_mul_f64 v[223:224], v[84:85], s[16:17]
	v_mul_f64 v[229:230], v[84:85], s[10:11]
	;; [unrolled: 1-line block ×3, first 2 shown]
	v_add_f64 v[94:95], v[157:158], v[98:99]
	v_add_f64 v[26:27], v[82:83], v[26:27]
	;; [unrolled: 1-line block ×3, first 2 shown]
	v_fma_f64 v[82:83], v[66:67], s[6:7], v[215:216]
	v_fma_f64 v[98:99], v[66:67], s[24:25], v[217:218]
	v_add_f64 v[40:41], v[40:41], v[42:43]
	v_add_f64 v[42:43], v[106:107], v[90:91]
	;; [unrolled: 1-line block ×5, first 2 shown]
	v_fma_f64 v[30:31], v[70:71], s[34:35], v[185:186]
	v_fma_f64 v[70:71], v[70:71], s[16:17], v[124:125]
	;; [unrolled: 1-line block ×5, first 2 shown]
	v_fma_f64 v[54:55], v[68:69], s[14:15], -v[54:55]
	v_fma_f64 v[211:212], v[68:69], s[22:23], v[72:73]
	v_fma_f64 v[68:69], v[68:69], s[22:23], -v[72:73]
	v_add_f64 v[72:73], v[110:111], v[122:123]
	v_add_f64 v[110:111], v[209:210], v[120:121]
	;; [unrolled: 1-line block ×14, first 2 shown]
	v_fma_f64 v[88:89], v[66:67], s[6:7], -v[215:216]
	v_add_f64 v[48:49], v[159:160], v[48:49]
	v_fma_f64 v[80:81], v[64:65], s[18:19], v[128:129]
	v_fma_f64 v[118:119], v[66:67], s[2:3], v[219:220]
	;; [unrolled: 1-line block ×3, first 2 shown]
	v_fma_f64 v[143:144], v[66:67], s[14:15], -v[233:234]
	v_fma_f64 v[145:146], v[66:67], s[20:21], v[76:77]
	v_add_f64 v[92:93], v[92:93], v[114:115]
	v_add_f64 v[86:87], v[86:87], v[94:95]
	v_fma_f64 v[237:238], v[62:63], s[36:37], v[167:168]
	v_fma_f64 v[167:168], v[62:63], s[16:17], v[167:168]
	;; [unrolled: 1-line block ×4, first 2 shown]
	v_add_f64 v[18:19], v[22:23], v[18:19]
	v_add_f64 v[16:17], v[20:21], v[16:17]
	;; [unrolled: 1-line block ×3, first 2 shown]
	v_fma_f64 v[22:23], v[64:65], s[40:41], v[177:178]
	v_fma_f64 v[28:29], v[64:65], s[12:13], v[177:178]
	;; [unrolled: 1-line block ×3, first 2 shown]
	v_fma_f64 v[128:129], v[66:67], s[2:3], -v[219:220]
	v_fma_f64 v[66:67], v[66:67], s[20:21], -v[76:77]
	v_add_f64 v[26:27], v[70:71], v[26:27]
	v_add_f64 v[52:53], v[130:131], v[52:53]
	v_fma_f64 v[70:71], v[60:61], s[6:7], v[223:224]
	v_add_f64 v[72:73], v[96:97], v[72:73]
	v_add_f64 v[76:77], v[195:196], v[110:111]
	;; [unrolled: 1-line block ×14, first 2 shown]
	v_fma_f64 v[54:55], v[62:63], s[30:31], v[44:45]
	v_fma_f64 v[44:45], v[62:63], s[10:11], v[44:45]
	v_add_f64 v[48:49], v[88:89], v[48:49]
	v_fma_f64 v[90:91], v[60:61], s[6:7], -v[223:224]
	v_fma_f64 v[94:95], v[60:61], s[14:15], v[229:230]
	v_fma_f64 v[106:107], v[60:61], s[2:3], v[165:166]
	v_fma_f64 v[114:115], v[60:61], s[2:3], -v[165:166]
	v_fma_f64 v[120:121], v[60:61], s[20:21], v[84:85]
	v_add_f64 v[40:41], v[112:113], v[40:41]
	v_add_f64 v[80:81], v[80:81], v[86:87]
	;; [unrolled: 1-line block ×5, first 2 shown]
	v_fma_f64 v[20:21], v[62:63], s[18:19], v[46:47]
	v_fma_f64 v[46:47], v[62:63], s[0:1], v[46:47]
	v_fma_f64 v[62:63], v[60:61], s[22:23], -v[100:101]
	v_fma_f64 v[18:19], v[60:61], s[22:23], v[100:101]
	v_fma_f64 v[100:101], v[60:61], s[14:15], -v[229:230]
	v_fma_f64 v[60:61], v[60:61], s[20:21], -v[84:85]
	v_add_f64 v[64:65], v[64:65], v[26:27]
	v_add_f64 v[72:73], v[203:204], v[72:73]
	;; [unrolled: 1-line block ×22, first 2 shown]
	v_mul_u32_u24_e32 v52, 0xd0, v56
	v_add_f64 v[12:13], v[62:63], v[48:49]
	s_delay_alu instid0(VALU_DEP_2)
	v_add3_u32 v52, 0, v52, v133
	v_add_f64 v[10:11], v[235:236], v[72:73]
	v_add_f64 v[8:9], v[18:19], v[76:77]
	;; [unrolled: 1-line block ×21, first 2 shown]
	ds_store_b128 v52, v[12:15] offset:96
	ds_store_b128 v52, v[8:11] offset:112
	;; [unrolled: 1-line block ×11, first 2 shown]
	ds_store_b128 v52, v[4:7]
	ds_store_b128 v52, v[44:47] offset:192
.LBB0_20:
	s_or_b32 exec_lo, exec_lo, s33
	v_and_b32_e32 v4, 0xff, v56
	s_waitcnt lgkmcnt(0)
	s_barrier
	buffer_gl0_inv
	s_mov_b32 s18, 0xf8bb580b
	v_mul_lo_u16 v4, 0x4f, v4
	s_mov_b32 s19, 0xbfe14ced
	s_mov_b32 s15, 0xbfed1bb4
	;; [unrolled: 1-line block ×4, first 2 shown]
	v_lshrrev_b16 v28, 10, v4
	s_mov_b32 s17, 0xbfefac9e
	s_mov_b32 s20, 0xbb3a28a1
	;; [unrolled: 1-line block ×4, first 2 shown]
	v_mul_lo_u16 v4, v28, 13
	s_mov_b32 s23, 0xbfd207e7
	s_mov_b32 s0, 0x8764f0ba
	;; [unrolled: 1-line block ×4, first 2 shown]
	v_sub_nc_u16 v4, v56, v4
	s_mov_b32 s3, 0x3fda9628
	s_mov_b32 s6, 0x640f44db
	;; [unrolled: 1-line block ×4, first 2 shown]
	v_and_b32_e32 v29, 0xff, v4
	s_mov_b32 s7, 0xbfc2375f
	s_mov_b32 s10, 0x7f775887
	s_mov_b32 s27, 0x3fd207e7
	s_mov_b32 s26, s22
	v_mul_u32_u24_e32 v4, 10, v29
	s_mov_b32 s11, 0xbfe4f49e
	s_mov_b32 s12, 0x9bcd5057
	;; [unrolled: 1-line block ×4, first 2 shown]
	v_lshlrev_b32_e32 v24, 4, v4
	s_mov_b32 s13, 0xbfeeb42a
	s_clause 0x9
	global_load_b128 v[4:7], v24, s[4:5]
	global_load_b128 v[8:11], v24, s[4:5] offset:144
	global_load_b128 v[12:15], v24, s[4:5] offset:16
	;; [unrolled: 1-line block ×9, first 2 shown]
	ds_load_b128 v[24:27], v57 offset:1248
	ds_load_b128 v[50:53], v57 offset:12480
	;; [unrolled: 1-line block ×10, first 2 shown]
	s_waitcnt vmcnt(9) lgkmcnt(9)
	v_mul_f64 v[54:55], v[26:27], v[6:7]
	v_mul_f64 v[6:7], v[24:25], v[6:7]
	s_waitcnt vmcnt(8) lgkmcnt(8)
	v_mul_f64 v[92:93], v[50:51], v[10:11]
	v_mul_f64 v[10:11], v[52:53], v[10:11]
	;; [unrolled: 3-line block ×7, first 2 shown]
	s_waitcnt vmcnt(2)
	v_mul_f64 v[106:107], v[78:79], v[40:41]
	v_mul_f64 v[40:41], v[76:77], v[40:41]
	s_waitcnt vmcnt(1) lgkmcnt(1)
	v_mul_f64 v[108:109], v[86:87], v[44:45]
	v_mul_f64 v[44:45], v[84:85], v[44:45]
	s_waitcnt vmcnt(0) lgkmcnt(0)
	v_mul_f64 v[110:111], v[90:91], v[48:49]
	v_mul_f64 v[48:49], v[88:89], v[48:49]
	v_fma_f64 v[54:55], v[24:25], v[4:5], -v[54:55]
	v_fma_f64 v[98:99], v[26:27], v[4:5], v[6:7]
	ds_load_b128 v[4:7], v134
	v_fma_f64 v[24:25], v[52:53], v[8:9], v[92:93]
	v_fma_f64 v[26:27], v[50:51], v[8:9], -v[10:11]
	v_fma_f64 v[50:51], v[60:61], v[12:13], -v[94:95]
	v_fma_f64 v[52:53], v[62:63], v[12:13], v[14:15]
	v_fma_f64 v[8:9], v[66:67], v[16:17], v[96:97]
	v_fma_f64 v[10:11], v[64:65], v[16:17], -v[18:19]
	v_fma_f64 v[60:61], v[68:69], v[20:21], -v[100:101]
	v_fma_f64 v[20:21], v[70:71], v[20:21], v[22:23]
	;; [unrolled: 4-line block ×3, first 2 shown]
	v_fma_f64 v[32:33], v[76:77], v[38:39], -v[106:107]
	v_fma_f64 v[34:35], v[78:79], v[38:39], v[40:41]
	v_fma_f64 v[36:37], v[84:85], v[42:43], -v[108:109]
	v_fma_f64 v[38:39], v[86:87], v[42:43], v[44:45]
	;; [unrolled: 2-line block ×3, first 2 shown]
	s_waitcnt lgkmcnt(0)
	s_barrier
	buffer_gl0_inv
	v_add_f64 v[16:17], v[4:5], v[54:55]
	v_add_f64 v[18:19], v[6:7], v[98:99]
	v_add_f64 v[44:45], v[98:99], -v[24:25]
	v_add_f64 v[46:47], v[54:55], -v[26:27]
	v_add_f64 v[54:55], v[54:55], v[26:27]
	v_add_f64 v[68:69], v[98:99], v[24:25]
	v_add_f64 v[48:49], v[52:53], -v[8:9]
	v_add_f64 v[62:63], v[50:51], -v[10:11]
	;; [unrolled: 1-line block ×4, first 2 shown]
	v_add_f64 v[70:71], v[60:61], v[14:15]
	v_add_f64 v[72:73], v[20:21], v[12:13]
	;; [unrolled: 1-line block ×3, first 2 shown]
	v_add_f64 v[76:77], v[30:31], -v[34:35]
	v_add_f64 v[78:79], v[22:23], -v[32:33]
	v_add_f64 v[80:81], v[30:31], v[34:35]
	v_add_f64 v[86:87], v[36:37], -v[40:41]
	v_add_f64 v[82:83], v[36:37], v[40:41]
	v_add_f64 v[84:85], v[38:39], v[42:43]
	v_add_f64 v[88:89], v[38:39], -v[42:43]
	v_add_f64 v[16:17], v[16:17], v[50:51]
	v_add_f64 v[18:19], v[18:19], v[52:53]
	;; [unrolled: 1-line block ×3, first 2 shown]
	v_mul_f64 v[90:91], v[44:45], s[18:19]
	v_mul_f64 v[92:93], v[46:47], s[18:19]
	;; [unrolled: 1-line block ×12, first 2 shown]
	s_mov_b32 s15, 0x3fed1bb4
	v_add_f64 v[52:53], v[52:53], v[8:9]
	v_mul_f64 v[110:111], v[48:49], s[20:21]
	v_mul_f64 v[112:113], v[62:63], s[20:21]
	;; [unrolled: 1-line block ×21, first 2 shown]
	v_add_f64 v[16:17], v[16:17], v[60:61]
	v_add_f64 v[18:19], v[18:19], v[20:21]
	v_mul_f64 v[20:21], v[48:49], s[26:27]
	v_mul_f64 v[60:61], v[62:63], s[26:27]
	;; [unrolled: 1-line block ×3, first 2 shown]
	v_fma_f64 v[169:170], v[54:55], s[2:3], -v[94:95]
	v_fma_f64 v[171:172], v[68:69], s[2:3], v[96:97]
	v_fma_f64 v[94:95], v[54:55], s[2:3], v[94:95]
	v_fma_f64 v[173:174], v[54:55], s[6:7], -v[98:99]
	v_fma_f64 v[175:176], v[68:69], s[6:7], v[100:101]
	v_fma_f64 v[98:99], v[54:55], s[6:7], v[98:99]
	v_fma_f64 v[177:178], v[54:55], s[10:11], -v[102:103]
	v_fma_f64 v[179:180], v[68:69], s[10:11], v[104:105]
	v_mul_f64 v[62:63], v[62:63], s[24:25]
	v_fma_f64 v[181:182], v[54:55], s[12:13], -v[44:45]
	v_fma_f64 v[183:184], v[68:69], s[12:13], v[46:47]
	v_fma_f64 v[102:103], v[54:55], s[10:11], v[102:103]
	;; [unrolled: 1-line block ×3, first 2 shown]
	v_fma_f64 v[46:47], v[68:69], s[12:13], -v[46:47]
	v_fma_f64 v[104:105], v[68:69], s[10:11], -v[104:105]
	;; [unrolled: 1-line block ×5, first 2 shown]
	v_fma_f64 v[187:188], v[52:53], s[10:11], v[112:113]
	v_fma_f64 v[110:111], v[50:51], s[10:11], v[110:111]
	v_fma_f64 v[193:194], v[50:51], s[6:7], -v[114:115]
	v_fma_f64 v[195:196], v[52:53], s[6:7], v[116:117]
	v_fma_f64 v[114:115], v[50:51], s[6:7], v[114:115]
	v_fma_f64 v[112:113], v[52:53], s[10:11], -v[112:113]
	v_mul_f64 v[143:144], v[78:79], s[28:29]
	v_fma_f64 v[197:198], v[70:71], s[12:13], -v[122:123]
	v_fma_f64 v[199:200], v[72:73], s[12:13], v[124:125]
	v_fma_f64 v[122:123], v[70:71], s[12:13], v[122:123]
	v_fma_f64 v[124:125], v[72:73], s[12:13], -v[124:125]
	v_fma_f64 v[201:202], v[70:71], s[0:1], -v[126:127]
	v_fma_f64 v[203:204], v[72:73], s[0:1], v[128:129]
	v_fma_f64 v[126:127], v[70:71], s[0:1], v[126:127]
	v_fma_f64 v[128:129], v[72:73], s[0:1], -v[128:129]
	v_add_f64 v[16:17], v[16:17], v[22:23]
	v_add_f64 v[18:19], v[18:19], v[30:31]
	v_mul_f64 v[22:23], v[86:87], s[14:15]
	v_fma_f64 v[30:31], v[54:55], s[0:1], -v[90:91]
	v_fma_f64 v[86:87], v[68:69], s[0:1], v[92:93]
	v_fma_f64 v[90:91], v[54:55], s[0:1], v[90:91]
	v_fma_f64 v[92:93], v[68:69], s[0:1], -v[92:93]
	v_fma_f64 v[54:55], v[50:51], s[2:3], -v[106:107]
	v_fma_f64 v[68:69], v[52:53], s[2:3], v[108:109]
	v_fma_f64 v[106:107], v[50:51], s[2:3], v[106:107]
	v_fma_f64 v[108:109], v[52:53], s[2:3], -v[108:109]
	v_add_f64 v[169:170], v[4:5], v[169:170]
	v_add_f64 v[171:172], v[6:7], v[171:172]
	v_fma_f64 v[189:190], v[50:51], s[12:13], -v[20:21]
	v_fma_f64 v[191:192], v[52:53], s[12:13], v[60:61]
	v_add_f64 v[94:95], v[4:5], v[94:95]
	v_add_f64 v[173:174], v[4:5], v[173:174]
	;; [unrolled: 1-line block ×3, first 2 shown]
	v_fma_f64 v[20:21], v[50:51], s[12:13], v[20:21]
	v_add_f64 v[98:99], v[4:5], v[98:99]
	v_add_f64 v[177:178], v[4:5], v[177:178]
	;; [unrolled: 1-line block ×6, first 2 shown]
	v_fma_f64 v[60:61], v[52:53], s[12:13], -v[60:61]
	v_add_f64 v[100:101], v[6:7], v[100:101]
	v_add_f64 v[96:97], v[6:7], v[96:97]
	v_fma_f64 v[209:210], v[70:71], s[2:3], -v[64:65]
	v_fma_f64 v[211:212], v[72:73], s[2:3], v[66:67]
	v_fma_f64 v[64:65], v[70:71], s[2:3], v[64:65]
	v_fma_f64 v[66:67], v[72:73], s[2:3], -v[66:67]
	v_mul_f64 v[145:146], v[76:77], s[18:19]
	v_mul_f64 v[147:148], v[78:79], s[18:19]
	;; [unrolled: 1-line block ×6, first 2 shown]
	v_add_f64 v[16:17], v[16:17], v[36:37]
	v_add_f64 v[18:19], v[18:19], v[38:39]
	v_fma_f64 v[36:37], v[52:53], s[6:7], -v[116:117]
	v_add_f64 v[30:31], v[4:5], v[30:31]
	v_fma_f64 v[38:39], v[50:51], s[0:1], -v[48:49]
	v_add_f64 v[90:91], v[4:5], v[90:91]
	v_add_f64 v[92:93], v[6:7], v[92:93]
	v_fma_f64 v[116:117], v[52:53], s[0:1], v[62:63]
	v_fma_f64 v[48:49], v[50:51], s[0:1], v[48:49]
	v_fma_f64 v[50:51], v[52:53], s[0:1], -v[62:63]
	v_add_f64 v[4:5], v[4:5], v[44:45]
	v_add_f64 v[44:45], v[6:7], v[46:47]
	v_add_f64 v[46:47], v[6:7], v[104:105]
	v_add_f64 v[6:7], v[6:7], v[86:87]
	v_fma_f64 v[52:53], v[70:71], s[6:7], -v[118:119]
	v_fma_f64 v[62:63], v[72:73], s[6:7], v[120:121]
	v_fma_f64 v[118:119], v[70:71], s[6:7], v[118:119]
	v_fma_f64 v[120:121], v[72:73], s[6:7], -v[120:121]
	v_fma_f64 v[86:87], v[70:71], s[10:11], v[130:131]
	v_fma_f64 v[104:105], v[72:73], s[10:11], -v[135:136]
	v_add_f64 v[20:21], v[20:21], v[98:99]
	v_add_f64 v[98:99], v[193:194], v[177:178]
	v_mul_f64 v[157:158], v[88:89], s[24:25]
	v_fma_f64 v[205:206], v[74:75], s[6:7], -v[141:142]
	v_add_f64 v[102:103], v[114:115], v[102:103]
	v_fma_f64 v[207:208], v[80:81], s[6:7], v[143:144]
	v_mul_f64 v[161:162], v[88:89], s[20:21]
	v_fma_f64 v[141:142], v[74:75], s[6:7], v[141:142]
	v_fma_f64 v[143:144], v[80:81], s[6:7], -v[143:144]
	v_mul_f64 v[153:154], v[88:89], s[22:23]
	v_mul_f64 v[165:166], v[88:89], s[16:17]
	;; [unrolled: 1-line block ×3, first 2 shown]
	v_add_f64 v[16:17], v[16:17], v[40:41]
	v_add_f64 v[18:19], v[18:19], v[42:43]
	v_fma_f64 v[40:41], v[70:71], s[10:11], -v[130:131]
	v_fma_f64 v[42:43], v[72:73], s[10:11], v[135:136]
	v_add_f64 v[30:31], v[54:55], v[30:31]
	v_add_f64 v[54:55], v[106:107], v[90:91]
	;; [unrolled: 1-line block ×17, first 2 shown]
	v_fma_f64 v[130:131], v[74:75], s[10:11], -v[137:138]
	v_fma_f64 v[135:136], v[80:81], s[10:11], v[139:140]
	v_fma_f64 v[137:138], v[74:75], s[10:11], v[137:138]
	v_fma_f64 v[139:140], v[80:81], s[10:11], -v[139:140]
	v_fma_f64 v[50:51], v[74:75], s[0:1], v[145:146]
	v_fma_f64 v[60:61], v[80:81], s[0:1], -v[147:148]
	v_fma_f64 v[68:69], v[74:75], s[12:13], -v[149:150]
	v_fma_f64 v[96:97], v[80:81], s[12:13], v[151:152]
	v_fma_f64 v[100:101], v[74:75], s[12:13], v[149:150]
	v_fma_f64 v[112:113], v[80:81], s[12:13], -v[151:152]
	v_fma_f64 v[149:150], v[74:75], s[2:3], -v[76:77]
	v_fma_f64 v[151:152], v[80:81], s[2:3], v[78:79]
	v_add_f64 v[20:21], v[64:65], v[20:21]
	v_add_f64 v[64:65], v[201:202], v[98:99]
	v_fma_f64 v[98:99], v[82:83], s[10:11], -v[161:162]
	v_fma_f64 v[114:115], v[82:83], s[12:13], -v[153:154]
	v_fma_f64 v[116:117], v[84:85], s[12:13], v[155:156]
	v_add_f64 v[16:17], v[16:17], v[32:33]
	v_add_f64 v[18:19], v[18:19], v[34:35]
	v_fma_f64 v[32:33], v[74:75], s[0:1], -v[145:146]
	v_fma_f64 v[34:35], v[80:81], s[0:1], v[147:148]
	v_add_f64 v[30:31], v[52:53], v[30:31]
	v_add_f64 v[52:53], v[118:119], v[54:55]
	;; [unrolled: 1-line block ×5, first 2 shown]
	v_fma_f64 v[74:75], v[74:75], s[2:3], v[76:77]
	v_fma_f64 v[76:77], v[80:81], s[2:3], -v[78:79]
	v_add_f64 v[78:79], v[122:123], v[92:93]
	v_add_f64 v[80:81], v[209:210], v[94:95]
	;; [unrolled: 1-line block ×13, first 2 shown]
	v_fma_f64 v[48:49], v[82:83], s[0:1], -v[157:158]
	v_fma_f64 v[62:63], v[84:85], s[0:1], v[159:160]
	v_fma_f64 v[102:103], v[84:85], s[10:11], v[163:164]
	v_fma_f64 v[122:123], v[82:83], s[2:3], -v[88:89]
	v_fma_f64 v[124:125], v[84:85], s[2:3], v[22:23]
	v_fma_f64 v[145:146], v[82:83], s[12:13], v[153:154]
	v_fma_f64 v[147:148], v[84:85], s[12:13], -v[155:156]
	v_fma_f64 v[66:67], v[82:83], s[0:1], v[157:158]
	v_fma_f64 v[86:87], v[84:85], s[0:1], -v[159:160]
	v_fma_f64 v[104:105], v[82:83], s[10:11], v[161:162]
	v_add_f64 v[64:65], v[68:69], v[64:65]
	v_fma_f64 v[106:107], v[84:85], s[10:11], -v[163:164]
	v_fma_f64 v[108:109], v[82:83], s[6:7], -v[165:166]
	v_fma_f64 v[110:111], v[84:85], s[6:7], v[167:168]
	v_add_f64 v[14:15], v[16:17], v[14:15]
	v_add_f64 v[12:13], v[18:19], v[12:13]
	v_fma_f64 v[118:119], v[82:83], s[6:7], v[165:166]
	v_fma_f64 v[120:121], v[84:85], s[6:7], -v[167:168]
	v_fma_f64 v[82:83], v[82:83], s[2:3], v[88:89]
	v_add_f64 v[18:19], v[137:138], v[52:53]
	v_add_f64 v[52:53], v[139:140], v[54:55]
	;; [unrolled: 1-line block ×4, first 2 shown]
	v_fma_f64 v[22:23], v[84:85], s[2:3], -v[22:23]
	v_add_f64 v[50:51], v[50:51], v[20:21]
	v_add_f64 v[72:73], v[141:142], v[78:79]
	;; [unrolled: 1-line block ×15, first 2 shown]
	v_cmp_gt_u32_e64 s0, 0x41, v56
	v_add_f64 v[42:43], v[122:123], v[64:65]
	v_add_f64 v[92:93], v[14:15], v[10:11]
	;; [unrolled: 1-line block ×24, first 2 shown]
	v_and_b32_e32 v24, 0xffff, v28
	v_lshlrev_b32_e32 v25, 4, v29
	s_delay_alu instid0(VALU_DEP_2) | instskip(NEXT) | instid1(VALU_DEP_1)
	v_mad_u32_u24 v24, 0x8f0, v24, 0
	v_add3_u32 v24, v24, v25, v133
	ds_store_b128 v24, v[34:37] offset:416
	ds_store_b128 v24, v[38:41] offset:624
	;; [unrolled: 1-line block ×9, first 2 shown]
	ds_store_b128 v24, v[50:53]
	ds_store_b128 v24, v[30:33] offset:208
	s_waitcnt lgkmcnt(0)
	s_barrier
	buffer_gl0_inv
	ds_load_b128 v[24:27], v134
	ds_load_b128 v[36:39], v57 offset:2288
	ds_load_b128 v[28:31], v57 offset:4576
	;; [unrolled: 1-line block ×5, first 2 shown]
	s_and_saveexec_b32 s1, s0
	s_cbranch_execz .LBB0_22
; %bb.21:
	ds_load_b128 v[4:7], v57 offset:1248
	ds_load_b128 v[8:11], v57 offset:3536
	;; [unrolled: 1-line block ×6, first 2 shown]
.LBB0_22:
	s_or_b32 exec_lo, exec_lo, s1
	v_mul_u32_u24_e32 v48, 5, v56
	s_mov_b32 s2, 0xe8584caa
	s_mov_b32 s3, 0x3febb67a
	;; [unrolled: 1-line block ×4, first 2 shown]
	v_lshlrev_b32_e32 v68, 4, v48
	s_clause 0x4
	global_load_b128 v[48:51], v68, s[4:5] offset:2112
	global_load_b128 v[52:55], v68, s[4:5] offset:2144
	;; [unrolled: 1-line block ×5, first 2 shown]
	s_waitcnt vmcnt(0) lgkmcnt(0)
	s_barrier
	buffer_gl0_inv
	v_mul_f64 v[72:73], v[42:43], v[50:51]
	v_mul_f64 v[50:51], v[40:41], v[50:51]
	v_mul_f64 v[74:75], v[44:45], v[54:55]
	v_mul_f64 v[54:55], v[46:47], v[54:55]
	v_mul_f64 v[76:77], v[38:39], v[62:63]
	v_mul_f64 v[62:63], v[36:37], v[62:63]
	v_fma_f64 v[40:41], v[40:41], v[48:49], -v[72:73]
	v_fma_f64 v[42:43], v[42:43], v[48:49], v[50:51]
	v_fma_f64 v[46:47], v[46:47], v[52:53], v[74:75]
	v_fma_f64 v[44:45], v[44:45], v[52:53], -v[54:55]
	v_mul_f64 v[48:49], v[30:31], v[66:67]
	v_mul_f64 v[50:51], v[28:29], v[66:67]
	;; [unrolled: 1-line block ×4, first 2 shown]
	v_fma_f64 v[36:37], v[36:37], v[60:61], -v[76:77]
	v_fma_f64 v[38:39], v[38:39], v[60:61], v[62:63]
	v_add_f64 v[60:61], v[42:43], v[46:47]
	v_add_f64 v[62:63], v[40:41], v[44:45]
	v_fma_f64 v[28:29], v[28:29], v[64:65], -v[48:49]
	v_fma_f64 v[30:31], v[30:31], v[64:65], v[50:51]
	v_fma_f64 v[32:33], v[32:33], v[68:69], -v[52:53]
	v_fma_f64 v[34:35], v[34:35], v[68:69], v[54:55]
	v_add_f64 v[48:49], v[42:43], -v[46:47]
	v_add_f64 v[50:51], v[40:41], -v[44:45]
	v_fma_f64 v[52:53], v[60:61], -0.5, v[38:39]
	v_fma_f64 v[54:55], v[62:63], -0.5, v[36:37]
	v_add_f64 v[36:37], v[36:37], v[40:41]
	v_add_f64 v[38:39], v[38:39], v[42:43]
	;; [unrolled: 1-line block ×4, first 2 shown]
	v_fma_f64 v[64:65], v[50:51], s[6:7], v[52:53]
	v_fma_f64 v[66:67], v[48:49], s[6:7], v[54:55]
	;; [unrolled: 1-line block ×4, first 2 shown]
	v_add_f64 v[52:53], v[24:25], v[28:29]
	v_add_f64 v[54:55], v[30:31], -v[34:35]
	v_add_f64 v[30:31], v[26:27], v[30:31]
	v_fma_f64 v[24:25], v[60:61], -0.5, v[24:25]
	v_add_f64 v[28:29], v[28:29], -v[32:33]
	v_fma_f64 v[26:27], v[62:63], -0.5, v[26:27]
	v_mul_f64 v[40:41], v[64:65], s[2:3]
	v_mul_f64 v[42:43], v[66:67], -0.5
	v_mul_f64 v[60:61], v[48:49], s[6:7]
	v_mul_f64 v[62:63], v[50:51], -0.5
	v_add_f64 v[32:33], v[52:53], v[32:33]
	v_add_f64 v[30:31], v[30:31], v[34:35]
	;; [unrolled: 1-line block ×4, first 2 shown]
	v_fma_f64 v[44:45], v[54:55], s[2:3], v[24:25]
	v_fma_f64 v[52:53], v[28:29], s[6:7], v[26:27]
	;; [unrolled: 1-line block ×4, first 2 shown]
	v_fma_f64 v[40:41], v[48:49], 0.5, v[40:41]
	v_fma_f64 v[42:43], v[50:51], s[2:3], v[42:43]
	v_fma_f64 v[48:49], v[64:65], 0.5, v[60:61]
	v_fma_f64 v[50:51], v[66:67], s[6:7], v[62:63]
	v_add_f64 v[24:25], v[32:33], v[34:35]
	v_add_f64 v[26:27], v[30:31], v[36:37]
	v_add_f64 v[28:29], v[32:33], -v[34:35]
	v_add_f64 v[30:31], v[30:31], -v[36:37]
	v_add_f64 v[32:33], v[44:45], v[40:41]
	v_add_f64 v[36:37], v[46:47], v[42:43]
	v_add_f64 v[34:35], v[52:53], v[48:49]
	v_add_f64 v[38:39], v[54:55], v[50:51]
	v_add_f64 v[40:41], v[44:45], -v[40:41]
	v_add_f64 v[44:45], v[46:47], -v[42:43]
	v_add_f64 v[42:43], v[52:53], -v[48:49]
	v_add_f64 v[46:47], v[54:55], -v[50:51]
	ds_store_b128 v57, v[24:27]
	ds_store_b128 v57, v[32:35] offset:2288
	ds_store_b128 v57, v[36:39] offset:4576
	;; [unrolled: 1-line block ×5, first 2 shown]
	s_and_saveexec_b32 s1, s0
	s_cbranch_execz .LBB0_24
; %bb.23:
	v_add_nc_u32_e32 v24, 0x4e, v56
	v_add_nc_u32_e32 v25, 0xffffffbf, v56
	s_delay_alu instid0(VALU_DEP_1) | instskip(SKIP_1) | instid1(VALU_DEP_2)
	v_cndmask_b32_e64 v24, v25, v24, s0
	v_mov_b32_e32 v25, 0
	v_mul_i32_i24_e32 v24, 5, v24
	s_delay_alu instid0(VALU_DEP_1) | instskip(NEXT) | instid1(VALU_DEP_1)
	v_lshlrev_b64 v[24:25], 4, v[24:25]
	v_add_co_u32 v40, s0, s4, v24
	s_delay_alu instid0(VALU_DEP_1)
	v_add_co_ci_u32_e64 v41, s0, s5, v25, s0
	s_clause 0x4
	global_load_b128 v[24:27], v[40:41], off offset:2112
	global_load_b128 v[28:31], v[40:41], off offset:2144
	;; [unrolled: 1-line block ×5, first 2 shown]
	s_waitcnt vmcnt(4)
	v_mul_f64 v[44:45], v[20:21], v[26:27]
	s_waitcnt vmcnt(3)
	v_mul_f64 v[46:47], v[0:1], v[30:31]
	v_mul_f64 v[26:27], v[22:23], v[26:27]
	;; [unrolled: 1-line block ×3, first 2 shown]
	s_waitcnt vmcnt(2)
	v_mul_f64 v[48:49], v[10:11], v[34:35]
	v_mul_f64 v[34:35], v[8:9], v[34:35]
	v_fma_f64 v[22:23], v[22:23], v[24:25], v[44:45]
	v_fma_f64 v[2:3], v[2:3], v[28:29], v[46:47]
	v_fma_f64 v[20:21], v[20:21], v[24:25], -v[26:27]
	v_fma_f64 v[0:1], v[0:1], v[28:29], -v[30:31]
	s_waitcnt vmcnt(1)
	v_mul_f64 v[24:25], v[14:15], v[38:39]
	v_mul_f64 v[26:27], v[12:13], v[38:39]
	s_waitcnt vmcnt(0)
	v_mul_f64 v[28:29], v[16:17], v[42:43]
	v_mul_f64 v[30:31], v[18:19], v[42:43]
	v_fma_f64 v[10:11], v[10:11], v[32:33], v[34:35]
	v_fma_f64 v[8:9], v[8:9], v[32:33], -v[48:49]
	v_add_f64 v[34:35], v[22:23], v[2:3]
	v_add_f64 v[32:33], v[20:21], v[0:1]
	v_fma_f64 v[12:13], v[12:13], v[36:37], -v[24:25]
	v_fma_f64 v[14:15], v[14:15], v[36:37], v[26:27]
	v_fma_f64 v[18:19], v[18:19], v[40:41], v[28:29]
	v_fma_f64 v[16:17], v[16:17], v[40:41], -v[30:31]
	v_add_f64 v[24:25], v[20:21], -v[0:1]
	v_add_f64 v[28:29], v[22:23], -v[2:3]
	v_fma_f64 v[26:27], v[34:35], -0.5, v[10:11]
	v_add_f64 v[10:11], v[10:11], v[22:23]
	v_fma_f64 v[30:31], v[32:33], -0.5, v[8:9]
	v_add_f64 v[8:9], v[8:9], v[20:21]
	v_add_f64 v[32:33], v[14:15], v[18:19]
	;; [unrolled: 1-line block ×3, first 2 shown]
	v_fma_f64 v[36:37], v[24:25], s[2:3], v[26:27]
	v_fma_f64 v[24:25], v[24:25], s[6:7], v[26:27]
	;; [unrolled: 1-line block ×4, first 2 shown]
	v_add_f64 v[28:29], v[12:13], -v[16:17]
	v_add_f64 v[30:31], v[6:7], v[14:15]
	v_add_f64 v[12:13], v[4:5], v[12:13]
	v_fma_f64 v[6:7], v[32:33], -0.5, v[6:7]
	v_add_f64 v[14:15], v[14:15], -v[18:19]
	v_fma_f64 v[4:5], v[34:35], -0.5, v[4:5]
	v_add_f64 v[10:11], v[10:11], v[2:3]
	v_add_f64 v[8:9], v[8:9], v[0:1]
	v_mul_f64 v[20:21], v[36:37], -0.5
	v_mul_f64 v[32:33], v[24:25], s[2:3]
	v_mul_f64 v[22:23], v[38:39], s[6:7]
	v_mul_f64 v[34:35], v[26:27], -0.5
	v_add_f64 v[18:19], v[30:31], v[18:19]
	v_add_f64 v[12:13], v[12:13], v[16:17]
	v_fma_f64 v[16:17], v[28:29], s[2:3], v[6:7]
	v_fma_f64 v[28:29], v[28:29], s[6:7], v[6:7]
	;; [unrolled: 1-line block ×5, first 2 shown]
	v_fma_f64 v[22:23], v[24:25], 0.5, v[22:23]
	v_fma_f64 v[24:25], v[38:39], 0.5, v[32:33]
	v_fma_f64 v[32:33], v[36:37], s[2:3], v[34:35]
	v_add_f64 v[6:7], v[18:19], v[10:11]
	v_add_f64 v[4:5], v[12:13], v[8:9]
	v_add_f64 v[2:3], v[18:19], -v[10:11]
	v_add_f64 v[0:1], v[12:13], -v[8:9]
	;; [unrolled: 1-line block ×3, first 2 shown]
	v_add_f64 v[14:15], v[16:17], v[20:21]
	v_add_f64 v[18:19], v[28:29], v[22:23]
	;; [unrolled: 1-line block ×4, first 2 shown]
	v_add_f64 v[22:23], v[28:29], -v[22:23]
	v_add_f64 v[20:21], v[26:27], -v[24:25]
	;; [unrolled: 1-line block ×3, first 2 shown]
	ds_store_b128 v57, v[4:7] offset:1248
	ds_store_b128 v57, v[16:19] offset:3536
	;; [unrolled: 1-line block ×6, first 2 shown]
.LBB0_24:
	s_or_b32 exec_lo, exec_lo, s1
	s_waitcnt lgkmcnt(0)
	s_barrier
	buffer_gl0_inv
	s_and_saveexec_b32 s0, vcc_lo
	s_cbranch_execz .LBB0_26
; %bb.25:
	v_lshl_add_u32 v28, v56, 4, v132
	v_dual_mov_b32 v57, 0 :: v_dual_add_nc_u32 v8, 0x4e, v56
	v_add_co_u32 v30, vcc_lo, s8, v58
	ds_load_b128 v[0:3], v28
	ds_load_b128 v[4:7], v28 offset:1248
	v_dual_mov_b32 v9, v57 :: v_dual_add_nc_u32 v12, 0x9c, v56
	v_lshlrev_b64 v[10:11], 4, v[56:57]
	v_add_co_ci_u32_e32 v31, vcc_lo, s9, v59, vcc_lo
	s_delay_alu instid0(VALU_DEP_3) | instskip(SKIP_1) | instid1(VALU_DEP_4)
	v_lshlrev_b64 v[8:9], 4, v[8:9]
	v_dual_mov_b32 v13, v57 :: v_dual_add_nc_u32 v14, 0xea, v56
	v_add_co_u32 v10, vcc_lo, v30, v10
	s_delay_alu instid0(VALU_DEP_4) | instskip(NEXT) | instid1(VALU_DEP_4)
	v_add_co_ci_u32_e32 v11, vcc_lo, v31, v11, vcc_lo
	v_add_co_u32 v8, vcc_lo, v30, v8
	v_add_co_ci_u32_e32 v9, vcc_lo, v31, v9, vcc_lo
	v_lshlrev_b64 v[12:13], 4, v[12:13]
	v_mov_b32_e32 v15, v57
	v_dual_mov_b32 v23, v57 :: v_dual_add_nc_u32 v24, 0x1d4, v56
	s_waitcnt lgkmcnt(1)
	global_store_b128 v[10:11], v[0:3], off
	s_waitcnt lgkmcnt(0)
	global_store_b128 v[8:9], v[4:7], off
	v_dual_mov_b32 v9, v57 :: v_dual_add_nc_u32 v8, 0x138, v56
	v_add_nc_u32_e32 v22, 0x186, v56
	ds_load_b128 v[0:3], v28 offset:2496
	ds_load_b128 v[4:7], v28 offset:3744
	v_add_co_u32 v16, vcc_lo, v30, v12
	v_add_co_ci_u32_e32 v17, vcc_lo, v31, v13, vcc_lo
	v_lshlrev_b64 v[18:19], 4, v[14:15]
	v_lshlrev_b64 v[20:21], 4, v[8:9]
	ds_load_b128 v[8:11], v28 offset:4992
	ds_load_b128 v[12:15], v28 offset:6240
	v_lshlrev_b64 v[22:23], 4, v[22:23]
	v_mov_b32_e32 v25, v57
	v_add_co_u32 v18, vcc_lo, v30, v18
	v_add_co_ci_u32_e32 v19, vcc_lo, v31, v19, vcc_lo
	v_add_co_u32 v20, vcc_lo, v30, v20
	v_add_co_ci_u32_e32 v21, vcc_lo, v31, v21, vcc_lo
	v_add_co_u32 v22, vcc_lo, v30, v22
	s_waitcnt lgkmcnt(3)
	global_store_b128 v[16:17], v[0:3], off
	s_waitcnt lgkmcnt(2)
	global_store_b128 v[18:19], v[4:7], off
	v_dual_mov_b32 v3, v57 :: v_dual_add_nc_u32 v2, 0x222, v56
	v_add_co_ci_u32_e32 v23, vcc_lo, v31, v23, vcc_lo
	v_lshlrev_b64 v[0:1], 4, v[24:25]
	s_waitcnt lgkmcnt(1)
	global_store_b128 v[20:21], v[8:11], off
	s_waitcnt lgkmcnt(0)
	global_store_b128 v[22:23], v[12:15], off
	v_add_nc_u32_e32 v10, 0x270, v56
	v_lshlrev_b64 v[8:9], 4, v[2:3]
	v_dual_mov_b32 v11, v57 :: v_dual_add_nc_u32 v24, 0x2be, v56
	v_add_co_u32 v20, vcc_lo, v30, v0
	v_add_co_ci_u32_e32 v21, vcc_lo, v31, v1, vcc_lo
	s_delay_alu instid0(VALU_DEP_4)
	v_add_co_u32 v22, vcc_lo, v30, v8
	ds_load_b128 v[0:3], v28 offset:7488
	ds_load_b128 v[4:7], v28 offset:8736
	v_add_co_ci_u32_e32 v23, vcc_lo, v31, v9, vcc_lo
	v_lshlrev_b64 v[26:27], 4, v[10:11]
	ds_load_b128 v[8:11], v28 offset:9984
	ds_load_b128 v[12:15], v28 offset:11232
	ds_load_b128 v[16:19], v28 offset:12480
	v_add_nc_u32_e32 v56, 0x30c, v56
	v_lshlrev_b64 v[24:25], 4, v[24:25]
	v_add_co_u32 v26, vcc_lo, v30, v26
	s_delay_alu instid0(VALU_DEP_3) | instskip(SKIP_1) | instid1(VALU_DEP_4)
	v_lshlrev_b64 v[28:29], 4, v[56:57]
	v_add_co_ci_u32_e32 v27, vcc_lo, v31, v27, vcc_lo
	v_add_co_u32 v24, vcc_lo, v30, v24
	v_add_co_ci_u32_e32 v25, vcc_lo, v31, v25, vcc_lo
	s_delay_alu instid0(VALU_DEP_4)
	v_add_co_u32 v28, vcc_lo, v30, v28
	v_add_co_ci_u32_e32 v29, vcc_lo, v31, v29, vcc_lo
	s_waitcnt lgkmcnt(4)
	global_store_b128 v[20:21], v[0:3], off
	s_waitcnt lgkmcnt(3)
	global_store_b128 v[22:23], v[4:7], off
	;; [unrolled: 2-line block ×5, first 2 shown]
.LBB0_26:
	s_nop 0
	s_sendmsg sendmsg(MSG_DEALLOC_VGPRS)
	s_endpgm
	.section	.rodata,"a",@progbits
	.p2align	6, 0x0
	.amdhsa_kernel fft_rtc_fwd_len858_factors_13_11_6_wgs_234_tpt_78_halfLds_dp_ip_CI_unitstride_sbrr_C2R_dirReg
		.amdhsa_group_segment_fixed_size 0
		.amdhsa_private_segment_fixed_size 0
		.amdhsa_kernarg_size 88
		.amdhsa_user_sgpr_count 15
		.amdhsa_user_sgpr_dispatch_ptr 0
		.amdhsa_user_sgpr_queue_ptr 0
		.amdhsa_user_sgpr_kernarg_segment_ptr 1
		.amdhsa_user_sgpr_dispatch_id 0
		.amdhsa_user_sgpr_private_segment_size 0
		.amdhsa_wavefront_size32 1
		.amdhsa_uses_dynamic_stack 0
		.amdhsa_enable_private_segment 0
		.amdhsa_system_sgpr_workgroup_id_x 1
		.amdhsa_system_sgpr_workgroup_id_y 0
		.amdhsa_system_sgpr_workgroup_id_z 0
		.amdhsa_system_sgpr_workgroup_info 0
		.amdhsa_system_vgpr_workitem_id 0
		.amdhsa_next_free_vgpr 239
		.amdhsa_next_free_sgpr 42
		.amdhsa_reserve_vcc 1
		.amdhsa_float_round_mode_32 0
		.amdhsa_float_round_mode_16_64 0
		.amdhsa_float_denorm_mode_32 3
		.amdhsa_float_denorm_mode_16_64 3
		.amdhsa_dx10_clamp 1
		.amdhsa_ieee_mode 1
		.amdhsa_fp16_overflow 0
		.amdhsa_workgroup_processor_mode 1
		.amdhsa_memory_ordered 1
		.amdhsa_forward_progress 0
		.amdhsa_shared_vgpr_count 0
		.amdhsa_exception_fp_ieee_invalid_op 0
		.amdhsa_exception_fp_denorm_src 0
		.amdhsa_exception_fp_ieee_div_zero 0
		.amdhsa_exception_fp_ieee_overflow 0
		.amdhsa_exception_fp_ieee_underflow 0
		.amdhsa_exception_fp_ieee_inexact 0
		.amdhsa_exception_int_div_zero 0
	.end_amdhsa_kernel
	.text
.Lfunc_end0:
	.size	fft_rtc_fwd_len858_factors_13_11_6_wgs_234_tpt_78_halfLds_dp_ip_CI_unitstride_sbrr_C2R_dirReg, .Lfunc_end0-fft_rtc_fwd_len858_factors_13_11_6_wgs_234_tpt_78_halfLds_dp_ip_CI_unitstride_sbrr_C2R_dirReg
                                        ; -- End function
	.section	.AMDGPU.csdata,"",@progbits
; Kernel info:
; codeLenInByte = 12468
; NumSgprs: 44
; NumVgprs: 239
; ScratchSize: 0
; MemoryBound: 0
; FloatMode: 240
; IeeeMode: 1
; LDSByteSize: 0 bytes/workgroup (compile time only)
; SGPRBlocks: 5
; VGPRBlocks: 29
; NumSGPRsForWavesPerEU: 44
; NumVGPRsForWavesPerEU: 239
; Occupancy: 6
; WaveLimiterHint : 1
; COMPUTE_PGM_RSRC2:SCRATCH_EN: 0
; COMPUTE_PGM_RSRC2:USER_SGPR: 15
; COMPUTE_PGM_RSRC2:TRAP_HANDLER: 0
; COMPUTE_PGM_RSRC2:TGID_X_EN: 1
; COMPUTE_PGM_RSRC2:TGID_Y_EN: 0
; COMPUTE_PGM_RSRC2:TGID_Z_EN: 0
; COMPUTE_PGM_RSRC2:TIDIG_COMP_CNT: 0
	.text
	.p2alignl 7, 3214868480
	.fill 96, 4, 3214868480
	.type	__hip_cuid_66ea606244bc617c,@object ; @__hip_cuid_66ea606244bc617c
	.section	.bss,"aw",@nobits
	.globl	__hip_cuid_66ea606244bc617c
__hip_cuid_66ea606244bc617c:
	.byte	0                               ; 0x0
	.size	__hip_cuid_66ea606244bc617c, 1

	.ident	"AMD clang version 19.0.0git (https://github.com/RadeonOpenCompute/llvm-project roc-6.4.0 25133 c7fe45cf4b819c5991fe208aaa96edf142730f1d)"
	.section	".note.GNU-stack","",@progbits
	.addrsig
	.addrsig_sym __hip_cuid_66ea606244bc617c
	.amdgpu_metadata
---
amdhsa.kernels:
  - .args:
      - .actual_access:  read_only
        .address_space:  global
        .offset:         0
        .size:           8
        .value_kind:     global_buffer
      - .offset:         8
        .size:           8
        .value_kind:     by_value
      - .actual_access:  read_only
        .address_space:  global
        .offset:         16
        .size:           8
        .value_kind:     global_buffer
      - .actual_access:  read_only
        .address_space:  global
        .offset:         24
        .size:           8
        .value_kind:     global_buffer
      - .offset:         32
        .size:           8
        .value_kind:     by_value
      - .actual_access:  read_only
        .address_space:  global
        .offset:         40
        .size:           8
        .value_kind:     global_buffer
      - .actual_access:  read_only
        .address_space:  global
        .offset:         48
        .size:           8
        .value_kind:     global_buffer
      - .offset:         56
        .size:           4
        .value_kind:     by_value
      - .actual_access:  read_only
        .address_space:  global
        .offset:         64
        .size:           8
        .value_kind:     global_buffer
      - .actual_access:  read_only
        .address_space:  global
        .offset:         72
        .size:           8
        .value_kind:     global_buffer
      - .address_space:  global
        .offset:         80
        .size:           8
        .value_kind:     global_buffer
    .group_segment_fixed_size: 0
    .kernarg_segment_align: 8
    .kernarg_segment_size: 88
    .language:       OpenCL C
    .language_version:
      - 2
      - 0
    .max_flat_workgroup_size: 234
    .name:           fft_rtc_fwd_len858_factors_13_11_6_wgs_234_tpt_78_halfLds_dp_ip_CI_unitstride_sbrr_C2R_dirReg
    .private_segment_fixed_size: 0
    .sgpr_count:     44
    .sgpr_spill_count: 0
    .symbol:         fft_rtc_fwd_len858_factors_13_11_6_wgs_234_tpt_78_halfLds_dp_ip_CI_unitstride_sbrr_C2R_dirReg.kd
    .uniform_work_group_size: 1
    .uses_dynamic_stack: false
    .vgpr_count:     239
    .vgpr_spill_count: 0
    .wavefront_size: 32
    .workgroup_processor_mode: 1
amdhsa.target:   amdgcn-amd-amdhsa--gfx1100
amdhsa.version:
  - 1
  - 2
...

	.end_amdgpu_metadata
